;; amdgpu-corpus repo=ROCm/rocFFT kind=compiled arch=gfx1201 opt=O3
	.text
	.amdgcn_target "amdgcn-amd-amdhsa--gfx1201"
	.amdhsa_code_object_version 6
	.protected	fft_rtc_back_len2880_factors_10_6_6_2_2_2_wgs_96_tpt_96_halfLds_dp_op_CI_CI_sbrr_dirReg ; -- Begin function fft_rtc_back_len2880_factors_10_6_6_2_2_2_wgs_96_tpt_96_halfLds_dp_op_CI_CI_sbrr_dirReg
	.globl	fft_rtc_back_len2880_factors_10_6_6_2_2_2_wgs_96_tpt_96_halfLds_dp_op_CI_CI_sbrr_dirReg
	.p2align	8
	.type	fft_rtc_back_len2880_factors_10_6_6_2_2_2_wgs_96_tpt_96_halfLds_dp_op_CI_CI_sbrr_dirReg,@function
fft_rtc_back_len2880_factors_10_6_6_2_2_2_wgs_96_tpt_96_halfLds_dp_op_CI_CI_sbrr_dirReg: ; @fft_rtc_back_len2880_factors_10_6_6_2_2_2_wgs_96_tpt_96_halfLds_dp_op_CI_CI_sbrr_dirReg
; %bb.0:
	s_clause 0x2
	s_load_b128 s[12:15], s[0:1], 0x18
	s_load_b128 s[8:11], s[0:1], 0x0
	;; [unrolled: 1-line block ×3, first 2 shown]
	v_mul_u32_u24_e32 v1, 0x2ab, v0
	v_mov_b32_e32 v4, 0
	v_mov_b32_e32 v5, 0
	s_wait_kmcnt 0x0
	s_load_b64 s[18:19], s[12:13], 0x0
	s_load_b64 s[16:17], s[14:15], 0x0
	v_lshrrev_b32_e32 v2, 16, v1
	v_mov_b32_e32 v1, 0
	v_cmp_lt_u64_e64 s2, s[10:11], 2
	s_delay_alu instid0(VALU_DEP_2) | instskip(NEXT) | instid1(VALU_DEP_2)
	v_dual_mov_b32 v7, v1 :: v_dual_add_nc_u32 v6, ttmp9, v2
	s_and_b32 vcc_lo, exec_lo, s2
	s_cbranch_vccnz .LBB0_8
; %bb.1:
	s_load_b64 s[2:3], s[0:1], 0x10
	v_mov_b32_e32 v4, 0
	v_mov_b32_e32 v5, 0
	s_add_nc_u64 s[20:21], s[14:15], 8
	s_add_nc_u64 s[22:23], s[12:13], 8
	s_mov_b64 s[24:25], 1
	s_delay_alu instid0(VALU_DEP_1)
	v_dual_mov_b32 v123, v5 :: v_dual_mov_b32 v122, v4
	s_wait_kmcnt 0x0
	s_add_nc_u64 s[26:27], s[2:3], 8
	s_mov_b32 s3, 0
.LBB0_2:                                ; =>This Inner Loop Header: Depth=1
	s_load_b64 s[28:29], s[26:27], 0x0
                                        ; implicit-def: $vgpr124_vgpr125
	s_mov_b32 s2, exec_lo
	s_wait_kmcnt 0x0
	v_or_b32_e32 v2, s29, v7
	s_delay_alu instid0(VALU_DEP_1)
	v_cmpx_ne_u64_e32 0, v[1:2]
	s_wait_alu 0xfffe
	s_xor_b32 s30, exec_lo, s2
	s_cbranch_execz .LBB0_4
; %bb.3:                                ;   in Loop: Header=BB0_2 Depth=1
	s_cvt_f32_u32 s2, s28
	s_cvt_f32_u32 s31, s29
	s_sub_nc_u64 s[36:37], 0, s[28:29]
	s_wait_alu 0xfffe
	s_delay_alu instid0(SALU_CYCLE_1) | instskip(SKIP_1) | instid1(SALU_CYCLE_2)
	s_fmamk_f32 s2, s31, 0x4f800000, s2
	s_wait_alu 0xfffe
	v_s_rcp_f32 s2, s2
	s_delay_alu instid0(TRANS32_DEP_1) | instskip(SKIP_1) | instid1(SALU_CYCLE_2)
	s_mul_f32 s2, s2, 0x5f7ffffc
	s_wait_alu 0xfffe
	s_mul_f32 s31, s2, 0x2f800000
	s_wait_alu 0xfffe
	s_delay_alu instid0(SALU_CYCLE_2) | instskip(SKIP_1) | instid1(SALU_CYCLE_2)
	s_trunc_f32 s31, s31
	s_wait_alu 0xfffe
	s_fmamk_f32 s2, s31, 0xcf800000, s2
	s_cvt_u32_f32 s35, s31
	s_wait_alu 0xfffe
	s_delay_alu instid0(SALU_CYCLE_1) | instskip(SKIP_1) | instid1(SALU_CYCLE_2)
	s_cvt_u32_f32 s34, s2
	s_wait_alu 0xfffe
	s_mul_u64 s[38:39], s[36:37], s[34:35]
	s_wait_alu 0xfffe
	s_mul_hi_u32 s41, s34, s39
	s_mul_i32 s40, s34, s39
	s_mul_hi_u32 s2, s34, s38
	s_mul_i32 s33, s35, s38
	s_wait_alu 0xfffe
	s_add_nc_u64 s[40:41], s[2:3], s[40:41]
	s_mul_hi_u32 s31, s35, s38
	s_mul_hi_u32 s42, s35, s39
	s_add_co_u32 s2, s40, s33
	s_wait_alu 0xfffe
	s_add_co_ci_u32 s2, s41, s31
	s_mul_i32 s38, s35, s39
	s_add_co_ci_u32 s39, s42, 0
	s_wait_alu 0xfffe
	s_add_nc_u64 s[38:39], s[2:3], s[38:39]
	s_wait_alu 0xfffe
	v_add_co_u32 v2, s2, s34, s38
	s_delay_alu instid0(VALU_DEP_1) | instskip(SKIP_1) | instid1(VALU_DEP_1)
	s_cmp_lg_u32 s2, 0
	s_add_co_ci_u32 s35, s35, s39
	v_readfirstlane_b32 s34, v2
	s_wait_alu 0xfffe
	s_delay_alu instid0(VALU_DEP_1)
	s_mul_u64 s[36:37], s[36:37], s[34:35]
	s_wait_alu 0xfffe
	s_mul_hi_u32 s39, s34, s37
	s_mul_i32 s38, s34, s37
	s_mul_hi_u32 s2, s34, s36
	s_mul_i32 s33, s35, s36
	s_wait_alu 0xfffe
	s_add_nc_u64 s[38:39], s[2:3], s[38:39]
	s_mul_hi_u32 s31, s35, s36
	s_mul_hi_u32 s34, s35, s37
	s_wait_alu 0xfffe
	s_add_co_u32 s2, s38, s33
	s_add_co_ci_u32 s2, s39, s31
	s_mul_i32 s36, s35, s37
	s_add_co_ci_u32 s37, s34, 0
	s_wait_alu 0xfffe
	s_add_nc_u64 s[36:37], s[2:3], s[36:37]
	s_wait_alu 0xfffe
	v_add_co_u32 v8, s2, v2, s36
	s_delay_alu instid0(VALU_DEP_1) | instskip(SKIP_1) | instid1(VALU_DEP_1)
	s_cmp_lg_u32 s2, 0
	s_add_co_ci_u32 s2, s35, s37
	v_mul_hi_u32 v12, v6, v8
	s_wait_alu 0xfffe
	v_mad_co_u64_u32 v[2:3], null, v6, s2, 0
	v_mad_co_u64_u32 v[8:9], null, v7, v8, 0
	;; [unrolled: 1-line block ×3, first 2 shown]
	s_delay_alu instid0(VALU_DEP_3) | instskip(SKIP_1) | instid1(VALU_DEP_4)
	v_add_co_u32 v2, vcc_lo, v12, v2
	s_wait_alu 0xfffd
	v_add_co_ci_u32_e32 v3, vcc_lo, 0, v3, vcc_lo
	s_delay_alu instid0(VALU_DEP_2) | instskip(SKIP_1) | instid1(VALU_DEP_2)
	v_add_co_u32 v2, vcc_lo, v2, v8
	s_wait_alu 0xfffd
	v_add_co_ci_u32_e32 v2, vcc_lo, v3, v9, vcc_lo
	s_wait_alu 0xfffd
	v_add_co_ci_u32_e32 v3, vcc_lo, 0, v11, vcc_lo
	s_delay_alu instid0(VALU_DEP_2) | instskip(SKIP_1) | instid1(VALU_DEP_2)
	v_add_co_u32 v8, vcc_lo, v2, v10
	s_wait_alu 0xfffd
	v_add_co_ci_u32_e32 v9, vcc_lo, 0, v3, vcc_lo
	s_delay_alu instid0(VALU_DEP_2) | instskip(SKIP_1) | instid1(VALU_DEP_3)
	v_mul_lo_u32 v10, s29, v8
	v_mad_co_u64_u32 v[2:3], null, s28, v8, 0
	v_mul_lo_u32 v11, s28, v9
	s_delay_alu instid0(VALU_DEP_2) | instskip(NEXT) | instid1(VALU_DEP_2)
	v_sub_co_u32 v2, vcc_lo, v6, v2
	v_add3_u32 v3, v3, v11, v10
	s_delay_alu instid0(VALU_DEP_1) | instskip(SKIP_1) | instid1(VALU_DEP_1)
	v_sub_nc_u32_e32 v10, v7, v3
	s_wait_alu 0xfffd
	v_subrev_co_ci_u32_e64 v10, s2, s29, v10, vcc_lo
	v_add_co_u32 v11, s2, v8, 2
	s_wait_alu 0xf1ff
	v_add_co_ci_u32_e64 v12, s2, 0, v9, s2
	v_sub_co_u32 v13, s2, v2, s28
	v_sub_co_ci_u32_e32 v3, vcc_lo, v7, v3, vcc_lo
	s_wait_alu 0xf1ff
	v_subrev_co_ci_u32_e64 v10, s2, 0, v10, s2
	s_delay_alu instid0(VALU_DEP_3) | instskip(NEXT) | instid1(VALU_DEP_3)
	v_cmp_le_u32_e32 vcc_lo, s28, v13
	v_cmp_eq_u32_e64 s2, s29, v3
	s_wait_alu 0xfffd
	v_cndmask_b32_e64 v13, 0, -1, vcc_lo
	v_cmp_le_u32_e32 vcc_lo, s29, v10
	s_wait_alu 0xfffd
	v_cndmask_b32_e64 v14, 0, -1, vcc_lo
	v_cmp_le_u32_e32 vcc_lo, s28, v2
	;; [unrolled: 3-line block ×3, first 2 shown]
	s_wait_alu 0xfffd
	v_cndmask_b32_e64 v15, 0, -1, vcc_lo
	v_cmp_eq_u32_e32 vcc_lo, s29, v10
	s_wait_alu 0xf1ff
	s_delay_alu instid0(VALU_DEP_2)
	v_cndmask_b32_e64 v2, v15, v2, s2
	s_wait_alu 0xfffd
	v_cndmask_b32_e32 v10, v14, v13, vcc_lo
	v_add_co_u32 v13, vcc_lo, v8, 1
	s_wait_alu 0xfffd
	v_add_co_ci_u32_e32 v14, vcc_lo, 0, v9, vcc_lo
	s_delay_alu instid0(VALU_DEP_3) | instskip(SKIP_1) | instid1(VALU_DEP_2)
	v_cmp_ne_u32_e32 vcc_lo, 0, v10
	s_wait_alu 0xfffd
	v_dual_cndmask_b32 v3, v14, v12 :: v_dual_cndmask_b32 v10, v13, v11
	v_cmp_ne_u32_e32 vcc_lo, 0, v2
	s_wait_alu 0xfffd
	s_delay_alu instid0(VALU_DEP_2)
	v_dual_cndmask_b32 v125, v9, v3 :: v_dual_cndmask_b32 v124, v8, v10
.LBB0_4:                                ;   in Loop: Header=BB0_2 Depth=1
	s_wait_alu 0xfffe
	s_and_not1_saveexec_b32 s2, s30
	s_cbranch_execz .LBB0_6
; %bb.5:                                ;   in Loop: Header=BB0_2 Depth=1
	v_cvt_f32_u32_e32 v2, s28
	s_sub_co_i32 s30, 0, s28
	v_mov_b32_e32 v125, v1
	s_delay_alu instid0(VALU_DEP_2) | instskip(NEXT) | instid1(TRANS32_DEP_1)
	v_rcp_iflag_f32_e32 v2, v2
	v_mul_f32_e32 v2, 0x4f7ffffe, v2
	s_delay_alu instid0(VALU_DEP_1) | instskip(SKIP_1) | instid1(VALU_DEP_1)
	v_cvt_u32_f32_e32 v2, v2
	s_wait_alu 0xfffe
	v_mul_lo_u32 v3, s30, v2
	s_delay_alu instid0(VALU_DEP_1) | instskip(NEXT) | instid1(VALU_DEP_1)
	v_mul_hi_u32 v3, v2, v3
	v_add_nc_u32_e32 v2, v2, v3
	s_delay_alu instid0(VALU_DEP_1) | instskip(NEXT) | instid1(VALU_DEP_1)
	v_mul_hi_u32 v2, v6, v2
	v_mul_lo_u32 v3, v2, s28
	v_add_nc_u32_e32 v8, 1, v2
	s_delay_alu instid0(VALU_DEP_2) | instskip(NEXT) | instid1(VALU_DEP_1)
	v_sub_nc_u32_e32 v3, v6, v3
	v_subrev_nc_u32_e32 v9, s28, v3
	v_cmp_le_u32_e32 vcc_lo, s28, v3
	s_wait_alu 0xfffd
	s_delay_alu instid0(VALU_DEP_2) | instskip(NEXT) | instid1(VALU_DEP_1)
	v_dual_cndmask_b32 v3, v3, v9 :: v_dual_cndmask_b32 v2, v2, v8
	v_cmp_le_u32_e32 vcc_lo, s28, v3
	s_delay_alu instid0(VALU_DEP_2) | instskip(SKIP_1) | instid1(VALU_DEP_1)
	v_add_nc_u32_e32 v8, 1, v2
	s_wait_alu 0xfffd
	v_cndmask_b32_e32 v124, v2, v8, vcc_lo
.LBB0_6:                                ;   in Loop: Header=BB0_2 Depth=1
	s_wait_alu 0xfffe
	s_or_b32 exec_lo, exec_lo, s2
	v_mul_lo_u32 v8, v125, s28
	s_delay_alu instid0(VALU_DEP_2)
	v_mul_lo_u32 v9, v124, s29
	s_load_b64 s[30:31], s[22:23], 0x0
	v_mad_co_u64_u32 v[2:3], null, v124, s28, 0
	s_load_b64 s[28:29], s[20:21], 0x0
	s_add_nc_u64 s[24:25], s[24:25], 1
	s_add_nc_u64 s[20:21], s[20:21], 8
	s_wait_alu 0xfffe
	v_cmp_ge_u64_e64 s2, s[24:25], s[10:11]
	s_add_nc_u64 s[22:23], s[22:23], 8
	s_add_nc_u64 s[26:27], s[26:27], 8
	v_add3_u32 v3, v3, v9, v8
	v_sub_co_u32 v2, vcc_lo, v6, v2
	s_wait_alu 0xfffd
	s_delay_alu instid0(VALU_DEP_2) | instskip(SKIP_2) | instid1(VALU_DEP_1)
	v_sub_co_ci_u32_e32 v3, vcc_lo, v7, v3, vcc_lo
	s_and_b32 vcc_lo, exec_lo, s2
	s_wait_kmcnt 0x0
	v_mul_lo_u32 v6, s30, v3
	v_mul_lo_u32 v7, s31, v2
	v_mad_co_u64_u32 v[4:5], null, s30, v2, v[4:5]
	v_mul_lo_u32 v3, s28, v3
	v_mul_lo_u32 v8, s29, v2
	v_mad_co_u64_u32 v[122:123], null, s28, v2, v[122:123]
	s_delay_alu instid0(VALU_DEP_4) | instskip(NEXT) | instid1(VALU_DEP_2)
	v_add3_u32 v5, v7, v5, v6
	v_add3_u32 v123, v8, v123, v3
	s_wait_alu 0xfffe
	s_cbranch_vccnz .LBB0_9
; %bb.7:                                ;   in Loop: Header=BB0_2 Depth=1
	v_dual_mov_b32 v6, v124 :: v_dual_mov_b32 v7, v125
	s_branch .LBB0_2
.LBB0_8:
	v_dual_mov_b32 v123, v5 :: v_dual_mov_b32 v122, v4
	s_delay_alu instid0(VALU_DEP_2)
	v_dual_mov_b32 v125, v7 :: v_dual_mov_b32 v124, v6
.LBB0_9:
	s_load_b64 s[0:1], s[0:1], 0x28
	v_mul_hi_u32 v1, 0x2aaaaab, v0
	s_lshl_b64 s[10:11], s[10:11], 3
                                        ; implicit-def: $vgpr120
                                        ; implicit-def: $vgpr130
                                        ; implicit-def: $vgpr137
                                        ; implicit-def: $vgpr149
                                        ; implicit-def: $vgpr132
                                        ; implicit-def: $vgpr145
                                        ; implicit-def: $vgpr147
                                        ; implicit-def: $vgpr143
                                        ; implicit-def: $vgpr133
                                        ; implicit-def: $vgpr139
                                        ; implicit-def: $vgpr126
                                        ; implicit-def: $vgpr141
                                        ; implicit-def: $vgpr128
                                        ; implicit-def: $vgpr135
                                        ; implicit-def: $vgpr142
	s_wait_kmcnt 0x0
	v_cmp_gt_u64_e32 vcc_lo, s[0:1], v[124:125]
	v_cmp_le_u64_e64 s0, s[0:1], v[124:125]
	s_delay_alu instid0(VALU_DEP_1)
	s_and_saveexec_b32 s1, s0
	s_wait_alu 0xfffe
	s_xor_b32 s0, exec_lo, s1
	s_cbranch_execz .LBB0_11
; %bb.10:
	v_mul_u32_u24_e32 v1, 0x60, v1
                                        ; implicit-def: $vgpr4_vgpr5
	v_mov_b32_e32 v121, 0
	s_delay_alu instid0(VALU_DEP_2) | instskip(NEXT) | instid1(VALU_DEP_2)
	v_sub_nc_u32_e32 v120, v0, v1
                                        ; implicit-def: $vgpr1
                                        ; implicit-def: $vgpr0
	v_dual_mov_b32 v131, v121 :: v_dual_mov_b32 v138, v121
	v_mov_b32_e32 v146, v121
	v_mov_b32_e32 v148, v121
	s_delay_alu instid0(VALU_DEP_4)
	v_add_nc_u32_e32 v130, 0x60, v120
	v_add_nc_u32_e32 v137, 0xc0, v120
	;; [unrolled: 1-line block ×5, first 2 shown]
	v_or_b32_e32 v147, 0x180, v120
	v_dual_mov_b32 v150, v121 :: v_dual_add_nc_u32 v143, 0x240, v120
	v_dual_mov_b32 v144, v121 :: v_dual_add_nc_u32 v133, 0x2a0, v120
	v_or_b32_e32 v139, 0x300, v120
	v_add_nc_u32_e32 v126, 0x360, v120
	v_add_nc_u32_e32 v141, 0x420, v120
	v_or_b32_e32 v128, 0x480, v120
	v_add_nc_u32_e32 v135, 0x4e0, v120
	v_add_nc_u32_e32 v142, 0x540, v120
.LBB0_11:
	s_wait_alu 0xfffe
	s_or_saveexec_b32 s1, s0
	s_add_nc_u64 s[2:3], s[14:15], s[10:11]
                                        ; implicit-def: $vgpr2_vgpr3
                                        ; implicit-def: $vgpr6_vgpr7
                                        ; implicit-def: $vgpr10_vgpr11
                                        ; implicit-def: $vgpr14_vgpr15
                                        ; implicit-def: $vgpr26_vgpr27
                                        ; implicit-def: $vgpr22_vgpr23
                                        ; implicit-def: $vgpr38_vgpr39
                                        ; implicit-def: $vgpr18_vgpr19
                                        ; implicit-def: $vgpr34_vgpr35
                                        ; implicit-def: $vgpr30_vgpr31
                                        ; implicit-def: $vgpr42_vgpr43
                                        ; implicit-def: $vgpr58_vgpr59
                                        ; implicit-def: $vgpr46_vgpr47
                                        ; implicit-def: $vgpr62_vgpr63
                                        ; implicit-def: $vgpr50_vgpr51
                                        ; implicit-def: $vgpr70_vgpr71
                                        ; implicit-def: $vgpr54_vgpr55
                                        ; implicit-def: $vgpr74_vgpr75
                                        ; implicit-def: $vgpr82_vgpr83
                                        ; implicit-def: $vgpr90_vgpr91
                                        ; implicit-def: $vgpr66_vgpr67
                                        ; implicit-def: $vgpr78_vgpr79
                                        ; implicit-def: $vgpr86_vgpr87
                                        ; implicit-def: $vgpr110_vgpr111
                                        ; implicit-def: $vgpr98_vgpr99
                                        ; implicit-def: $vgpr114_vgpr115
                                        ; implicit-def: $vgpr102_vgpr103
                                        ; implicit-def: $vgpr118_vgpr119
                                        ; implicit-def: $vgpr94_vgpr95
                                        ; implicit-def: $vgpr106_vgpr107
	s_wait_alu 0xfffe
	s_xor_b32 exec_lo, exec_lo, s1
	s_cbranch_execz .LBB0_13
; %bb.12:
	v_mul_u32_u24_e32 v1, 0x60, v1
	s_add_nc_u64 s[10:11], s[12:13], s[10:11]
	v_lshlrev_b64_e32 v[2:3], 4, v[4:5]
	s_load_b64 s[10:11], s[10:11], 0x0
	v_mov_b32_e32 v121, 0
	v_sub_nc_u32_e32 v120, v0, v1
	s_delay_alu instid0(VALU_DEP_2) | instskip(NEXT) | instid1(VALU_DEP_2)
	v_mov_b32_e32 v131, v121
	v_mad_co_u64_u32 v[0:1], null, s18, v120, 0
	v_add_nc_u32_e32 v126, 0x360, v120
	v_add_nc_u32_e32 v143, 0x240, v120
	v_or_b32_e32 v128, 0x480, v120
	v_or_b32_e32 v24, 0x900, v120
	;; [unrolled: 1-line block ×4, first 2 shown]
	v_mad_co_u64_u32 v[10:11], null, s19, v120, v[1:2]
	v_mad_co_u64_u32 v[11:12], null, s18, v126, 0
	v_add_nc_u32_e32 v145, 0x120, v120
	s_wait_kmcnt 0x0
	v_mul_lo_u32 v13, s11, v124
	v_mul_lo_u32 v14, s10, v125
	v_mad_co_u64_u32 v[8:9], null, s10, v124, 0
	v_mad_co_u64_u32 v[4:5], null, s18, v145, 0
	;; [unrolled: 1-line block ×4, first 2 shown]
	s_delay_alu instid0(VALU_DEP_4)
	v_add3_u32 v9, v9, v14, v13
	v_add_nc_u32_e32 v133, 0x2a0, v120
	v_mov_b32_e32 v1, v5
	v_add_nc_u32_e32 v135, 0x4e0, v120
	v_mov_b32_e32 v5, v7
	v_lshlrev_b64_e32 v[7:8], 4, v[8:9]
	v_add_nc_u32_e32 v18, 0x6c0, v120
	v_mad_co_u64_u32 v[13:14], null, s19, v145, v[1:2]
	v_mov_b32_e32 v1, v10
	v_mad_co_u64_u32 v[9:10], null, s19, v143, v[5:6]
	v_mov_b32_e32 v10, v12
	v_add_co_u32 v12, s0, s4, v7
	v_mov_b32_e32 v5, v13
	s_wait_alu 0xf1ff
	v_add_co_ci_u32_e64 v8, s0, s5, v8, s0
	v_mad_co_u64_u32 v[14:15], null, s18, v128, 0
	v_add_co_u32 v20, s0, v12, v2
	v_lshlrev_b64_e32 v[0:1], 4, v[0:1]
	v_dual_mov_b32 v7, v9 :: v_dual_add_nc_u32 v22, 0x7e0, v120
	s_wait_alu 0xf1ff
	v_add_co_ci_u32_e64 v21, s0, v8, v3, s0
	v_lshlrev_b64_e32 v[2:3], 4, v[4:5]
	v_mad_co_u64_u32 v[4:5], null, s19, v126, v[10:11]
	v_add_nc_u32_e32 v10, 0x5a0, v120
	v_add_co_u32 v0, s0, v20, v0
	v_lshlrev_b64_e32 v[5:6], 4, v[6:7]
	v_dual_mov_b32 v7, v15 :: v_dual_add_nc_u32 v26, 0xa20, v120
	s_delay_alu instid0(VALU_DEP_4)
	v_mad_co_u64_u32 v[16:17], null, s18, v10, 0
	s_wait_alu 0xf1ff
	v_add_co_ci_u32_e64 v1, s0, v21, v1, s0
	v_add_co_u32 v2, s0, v20, v2
	v_mov_b32_e32 v12, v4
	s_wait_alu 0xf1ff
	v_add_co_ci_u32_e64 v3, s0, v21, v3, s0
	v_mad_co_u64_u32 v[7:8], null, s19, v128, v[7:8]
	v_add_co_u32 v4, s0, v20, v5
	s_wait_alu 0xf1ff
	v_add_co_ci_u32_e64 v5, s0, v21, v6, s0
	v_lshlrev_b64_e32 v[8:9], 4, v[11:12]
	v_mov_b32_e32 v6, v17
	v_mad_co_u64_u32 v[12:13], null, s18, v18, 0
	v_add_nc_u32_e32 v130, 0x60, v120
	v_add_nc_u32_e32 v132, 0x3c0, v120
	s_delay_alu instid0(VALU_DEP_4) | instskip(SKIP_2) | instid1(VALU_DEP_4)
	v_mad_co_u64_u32 v[10:11], null, s19, v10, v[6:7]
	v_add_co_u32 v6, s0, v20, v8
	v_mov_b32_e32 v11, v13
	v_mad_co_u64_u32 v[30:31], null, s18, v132, 0
	v_or_b32_e32 v46, 0xa80, v120
	v_mov_b32_e32 v17, v10
	s_delay_alu instid0(VALU_DEP_4)
	v_mad_co_u64_u32 v[10:11], null, s19, v18, v[11:12]
	v_mad_co_u64_u32 v[18:19], null, s18, v24, 0
	v_mov_b32_e32 v15, v7
	s_wait_alu 0xf1ff
	v_add_co_ci_u32_e64 v7, s0, v21, v9, s0
	v_lshlrev_b64_e32 v[16:17], 4, v[16:17]
	v_mov_b32_e32 v13, v10
	v_lshlrev_b64_e32 v[8:9], 4, v[14:15]
	v_mad_co_u64_u32 v[14:15], null, s18, v22, 0
	v_add_nc_u32_e32 v42, 0x840, v120
	v_add_nc_u32_e32 v40, 0x720, v120
	;; [unrolled: 1-line block ×3, first 2 shown]
	v_add_co_u32 v8, s0, v20, v8
	s_wait_alu 0xf1ff
	v_add_co_ci_u32_e64 v9, s0, v21, v9, s0
	v_mov_b32_e32 v11, v15
	v_add_co_u32 v10, s0, v20, v16
	v_mov_b32_e32 v16, v19
	v_add_nc_u32_e32 v44, 0x960, v120
	s_delay_alu instid0(VALU_DEP_4) | instskip(SKIP_4) | instid1(VALU_DEP_4)
	v_mad_co_u64_u32 v[22:23], null, s19, v22, v[11:12]
	s_wait_alu 0xf1ff
	v_add_co_ci_u32_e64 v11, s0, v21, v17, s0
	v_mad_co_u64_u32 v[16:17], null, s19, v24, v[16:17]
	v_mad_co_u64_u32 v[24:25], null, s18, v130, 0
	v_mov_b32_e32 v15, v22
	v_mad_co_u64_u32 v[22:23], null, s18, v26, 0
	v_lshlrev_b64_e32 v[12:13], 4, v[12:13]
	v_mov_b32_e32 v19, v16
	s_delay_alu instid0(VALU_DEP_4)
	v_lshlrev_b64_e32 v[14:15], 4, v[14:15]
	v_add_nc_u32_e32 v149, 0x1e0, v120
	v_or_b32_e32 v139, 0x300, v120
	v_add_nc_u32_e32 v141, 0x420, v120
	v_mov_b32_e32 v17, v23
	v_add_co_u32 v12, s0, v20, v12
	s_wait_alu 0xf1ff
	v_add_co_ci_u32_e64 v13, s0, v21, v13, s0
	s_delay_alu instid0(VALU_DEP_3) | instskip(SKIP_4) | instid1(VALU_DEP_3)
	v_mad_co_u64_u32 v[16:17], null, s19, v26, v[17:18]
	v_lshlrev_b64_e32 v[17:18], 4, v[18:19]
	v_mov_b32_e32 v19, v25
	v_mad_co_u64_u32 v[26:27], null, s18, v147, 0
	v_add_co_u32 v14, s0, v20, v14
	v_mad_co_u64_u32 v[28:29], null, s19, v130, v[19:20]
	v_mov_b32_e32 v23, v16
	s_wait_alu 0xf1ff
	v_add_co_ci_u32_e64 v15, s0, v21, v15, s0
	v_add_co_u32 v16, s0, v20, v17
	s_wait_alu 0xf1ff
	v_add_co_ci_u32_e64 v17, s0, v21, v18, s0
	v_mov_b32_e32 v25, v28
	v_mad_co_u64_u32 v[28:29], null, s18, v133, 0
	v_lshlrev_b64_e32 v[18:19], 4, v[22:23]
	v_mov_b32_e32 v22, v27
	v_add_nc_u32_e32 v142, 0x540, v120
	v_mov_b32_e32 v146, v121
	v_mov_b32_e32 v144, v121
	v_or_b32_e32 v56, 0x780, v120
	v_mad_co_u64_u32 v[22:23], null, s19, v147, v[22:23]
	v_lshlrev_b64_e32 v[23:24], 4, v[24:25]
	v_mov_b32_e32 v25, v29
	v_add_co_u32 v18, s0, v20, v18
	s_wait_alu 0xf1ff
	v_add_co_ci_u32_e64 v19, s0, v21, v19, s0
	s_delay_alu instid0(VALU_DEP_3) | instskip(SKIP_4) | instid1(VALU_DEP_3)
	v_mad_co_u64_u32 v[32:33], null, s19, v133, v[25:26]
	v_mov_b32_e32 v27, v22
	v_add_co_u32 v22, s0, v20, v23
	s_wait_alu 0xf1ff
	v_add_co_ci_u32_e64 v23, s0, v21, v24, s0
	v_lshlrev_b64_e32 v[24:25], 4, v[26:27]
	v_mov_b32_e32 v29, v32
	v_mad_co_u64_u32 v[32:33], null, s18, v135, 0
	v_mov_b32_e32 v26, v31
	v_mov_b32_e32 v148, v121
	v_add_co_u32 v24, s0, v20, v24
	s_wait_alu 0xf1ff
	v_add_co_ci_u32_e64 v25, s0, v21, v25, s0
	v_mad_co_u64_u32 v[26:27], null, s19, v132, v[26:27]
	v_lshlrev_b64_e32 v[27:28], 4, v[28:29]
	v_dual_mov_b32 v29, v33 :: v_dual_mov_b32 v138, v121
	v_mad_co_u64_u32 v[52:53], null, s18, v142, 0
	v_add_nc_u32_e32 v57, 0x8a0, v120
	s_delay_alu instid0(VALU_DEP_3) | instskip(SKIP_4) | instid1(VALU_DEP_3)
	v_mad_co_u64_u32 v[36:37], null, s19, v135, v[29:30]
	v_mov_b32_e32 v31, v26
	v_add_co_u32 v26, s0, v20, v27
	s_wait_alu 0xf1ff
	v_add_co_ci_u32_e64 v27, s0, v21, v28, s0
	v_lshlrev_b64_e32 v[28:29], 4, v[30:31]
	v_mov_b32_e32 v33, v36
	v_mad_co_u64_u32 v[36:37], null, s18, v40, 0
	v_mov_b32_e32 v30, v35
	s_delay_alu instid0(VALU_DEP_4) | instskip(SKIP_2) | instid1(VALU_DEP_3)
	v_add_co_u32 v28, s0, v20, v28
	s_wait_alu 0xf1ff
	v_add_co_ci_u32_e64 v29, s0, v21, v29, s0
	v_mad_co_u64_u32 v[30:31], null, s19, v38, v[30:31]
	v_lshlrev_b64_e32 v[31:32], 4, v[32:33]
	v_mov_b32_e32 v33, v37
	v_mad_co_u64_u32 v[38:39], null, s18, v42, 0
	s_delay_alu instid0(VALU_DEP_2) | instskip(SKIP_4) | instid1(VALU_DEP_3)
	v_mad_co_u64_u32 v[40:41], null, s19, v40, v[33:34]
	v_mov_b32_e32 v35, v30
	v_add_co_u32 v30, s0, v20, v31
	s_wait_alu 0xf1ff
	v_add_co_ci_u32_e64 v31, s0, v21, v32, s0
	v_lshlrev_b64_e32 v[32:33], 4, v[34:35]
	v_dual_mov_b32 v34, v39 :: v_dual_mov_b32 v37, v40
	v_mad_co_u64_u32 v[40:41], null, s18, v44, 0
	s_delay_alu instid0(VALU_DEP_2) | instskip(NEXT) | instid1(VALU_DEP_3)
	v_mad_co_u64_u32 v[34:35], null, s19, v42, v[34:35]
	v_lshlrev_b64_e32 v[36:37], 4, v[36:37]
	v_mad_co_u64_u32 v[42:43], null, s18, v46, 0
	s_delay_alu instid0(VALU_DEP_4)
	v_mov_b32_e32 v35, v41
	v_add_co_u32 v32, s0, v20, v32
	v_mov_b32_e32 v39, v34
	s_wait_alu 0xf1ff
	v_add_co_ci_u32_e64 v33, s0, v21, v33, s0
	v_mad_co_u64_u32 v[44:45], null, s19, v44, v[35:36]
	v_add_co_u32 v34, s0, v20, v36
	s_wait_alu 0xf1ff
	v_add_co_ci_u32_e64 v35, s0, v21, v37, s0
	v_lshlrev_b64_e32 v[36:37], 4, v[38:39]
	s_delay_alu instid0(VALU_DEP_4) | instskip(SKIP_1) | instid1(VALU_DEP_2)
	v_dual_mov_b32 v38, v43 :: v_dual_mov_b32 v41, v44
	v_mad_co_u64_u32 v[44:45], null, s18, v137, 0
	v_mad_co_u64_u32 v[38:39], null, s19, v46, v[38:39]
	;; [unrolled: 1-line block ×3, first 2 shown]
	s_delay_alu instid0(VALU_DEP_4) | instskip(NEXT) | instid1(VALU_DEP_4)
	v_lshlrev_b64_e32 v[39:40], 4, v[40:41]
	v_mov_b32_e32 v41, v45
	v_add_co_u32 v36, s0, v20, v36
	v_mov_b32_e32 v43, v38
	s_wait_alu 0xf1ff
	v_add_co_ci_u32_e64 v37, s0, v21, v37, s0
	v_mov_b32_e32 v38, v47
	v_mad_co_u64_u32 v[47:48], null, s19, v137, v[41:42]
	v_mad_co_u64_u32 v[48:49], null, s18, v139, 0
	s_delay_alu instid0(VALU_DEP_3) | instskip(SKIP_1) | instid1(VALU_DEP_4)
	v_mad_co_u64_u32 v[50:51], null, s19, v149, v[38:39]
	v_add_co_u32 v38, s0, v20, v39
	v_mov_b32_e32 v45, v47
	s_wait_alu 0xf1ff
	v_add_co_ci_u32_e64 v39, s0, v21, v40, s0
	v_lshlrev_b64_e32 v[40:41], 4, v[42:43]
	v_mov_b32_e32 v47, v50
	v_mad_co_u64_u32 v[50:51], null, s18, v141, 0
	v_mov_b32_e32 v42, v49
	s_delay_alu instid0(VALU_DEP_3) | instskip(SKIP_1) | instid1(VALU_DEP_3)
	v_lshlrev_b64_e32 v[46:47], 4, v[46:47]
	v_add_co_u32 v40, s0, v20, v40
	v_mad_co_u64_u32 v[42:43], null, s19, v139, v[42:43]
	v_lshlrev_b64_e32 v[43:44], 4, v[44:45]
	v_mov_b32_e32 v45, v51
	v_mov_b32_e32 v51, v53
	s_wait_alu 0xf1ff
	v_add_co_ci_u32_e64 v41, s0, v21, v41, s0
	s_delay_alu instid0(VALU_DEP_3) | instskip(NEXT) | instid1(VALU_DEP_3)
	v_mad_co_u64_u32 v[53:54], null, s19, v141, v[45:46]
	v_mad_co_u64_u32 v[54:55], null, s19, v142, v[51:52]
	v_mov_b32_e32 v49, v42
	v_add_co_u32 v150, s0, v20, v43
	v_add_nc_u32_e32 v55, 0x660, v120
	s_wait_alu 0xf1ff
	v_add_co_ci_u32_e64 v151, s0, v21, v44, s0
	v_add_co_u32 v152, s0, v20, v46
	v_lshlrev_b64_e32 v[42:43], 4, v[48:49]
	s_wait_alu 0xf1ff
	v_add_co_ci_u32_e64 v153, s0, v21, v47, s0
	v_mad_co_u64_u32 v[44:45], null, s18, v55, 0
	v_mad_co_u64_u32 v[46:47], null, s18, v56, 0
	s_delay_alu instid0(VALU_DEP_4) | instskip(SKIP_3) | instid1(VALU_DEP_4)
	v_add_co_u32 v154, s0, v20, v42
	v_mov_b32_e32 v51, v53
	s_wait_alu 0xf1ff
	v_add_co_ci_u32_e64 v155, s0, v21, v43, s0
	v_dual_mov_b32 v42, v45 :: v_dual_mov_b32 v43, v47
	s_delay_alu instid0(VALU_DEP_3) | instskip(SKIP_1) | instid1(VALU_DEP_3)
	v_lshlrev_b64_e32 v[48:49], 4, v[50:51]
	v_mov_b32_e32 v53, v54
	v_mad_co_u64_u32 v[50:51], null, s19, v55, v[42:43]
	v_mad_co_u64_u32 v[54:55], null, s18, v57, 0
	;; [unrolled: 1-line block ×3, first 2 shown]
	v_add_co_u32 v156, s0, v20, v48
	s_delay_alu instid0(VALU_DEP_4)
	v_dual_mov_b32 v45, v50 :: v_dual_add_nc_u32 v50, 0x9c0, v120
	s_wait_alu 0xf1ff
	v_add_co_ci_u32_e64 v157, s0, v21, v49, s0
	v_mov_b32_e32 v43, v55
	v_mov_b32_e32 v47, v42
	v_mad_co_u64_u32 v[48:49], null, s18, v50, 0
	v_lshlrev_b64_e32 v[51:52], 4, v[52:53]
	v_add_nc_u32_e32 v53, 0xae0, v120
	v_mad_co_u64_u32 v[42:43], null, s19, v57, v[43:44]
	v_lshlrev_b64_e32 v[46:47], 4, v[46:47]
	v_lshlrev_b64_e32 v[43:44], 4, v[44:45]
	s_delay_alu instid0(VALU_DEP_4) | instskip(SKIP_4) | instid1(VALU_DEP_3)
	v_mad_co_u64_u32 v[56:57], null, s18, v53, 0
	v_mov_b32_e32 v45, v49
	v_add_co_u32 v158, s0, v20, v51
	s_wait_alu 0xf1ff
	v_add_co_ci_u32_e64 v159, s0, v21, v52, s0
	v_mad_co_u64_u32 v[50:51], null, s19, v50, v[45:46]
	v_mov_b32_e32 v49, v57
	v_mov_b32_e32 v55, v42
	v_add_co_u32 v160, s0, v20, v43
	s_wait_alu 0xf1ff
	v_add_co_ci_u32_e64 v161, s0, v21, v44, s0
	v_mad_co_u64_u32 v[51:52], null, s19, v53, v[49:50]
	v_lshlrev_b64_e32 v[42:43], 4, v[54:55]
	v_mov_b32_e32 v49, v50
	v_add_co_u32 v162, s0, v20, v46
	s_wait_alu 0xf1ff
	v_add_co_ci_u32_e64 v163, s0, v21, v47, s0
	v_mov_b32_e32 v57, v51
	v_lshlrev_b64_e32 v[44:45], 4, v[48:49]
	v_add_co_u32 v164, s0, v20, v42
	s_wait_alu 0xf1ff
	v_add_co_ci_u32_e64 v165, s0, v21, v43, s0
	v_lshlrev_b64_e32 v[42:43], 4, v[56:57]
	s_delay_alu instid0(VALU_DEP_4) | instskip(SKIP_2) | instid1(VALU_DEP_3)
	v_add_co_u32 v166, s0, v20, v44
	s_wait_alu 0xf1ff
	v_add_co_ci_u32_e64 v167, s0, v21, v45, s0
	v_add_co_u32 v168, s0, v20, v42
	s_wait_alu 0xf1ff
	v_add_co_ci_u32_e64 v169, s0, v21, v43, s0
	s_clause 0x1d
	global_load_b128 v[104:107], v[0:1], off
	global_load_b128 v[92:95], v[2:3], off
	;; [unrolled: 1-line block ×30, first 2 shown]
	v_mov_b32_e32 v150, v121
.LBB0_13:
	s_or_b32 exec_lo, exec_lo, s1
	s_wait_loadcnt 0x17
	v_add_f64_e32 v[163:164], v[108:109], v[112:113]
	s_wait_loadcnt 0x15
	v_add_f64_e32 v[165:166], v[76:77], v[116:117]
	v_add_f64_e32 v[167:168], v[110:111], v[114:115]
	;; [unrolled: 1-line block ×4, first 2 shown]
	s_wait_loadcnt 0x14
	v_add_f64_e32 v[175:176], v[64:65], v[100:101]
	v_add_f64_e32 v[177:178], v[86:87], v[98:99]
	;; [unrolled: 1-line block ×6, first 2 shown]
	s_wait_loadcnt 0x11
	v_add_f64_e32 v[159:160], v[72:73], v[88:89]
	v_add_f64_e32 v[161:162], v[74:75], v[90:91]
	v_add_f64_e64 v[171:172], v[118:119], -v[78:79]
	v_add_f64_e32 v[179:180], v[66:67], v[102:103]
	v_add_f64_e64 v[181:182], v[116:117], -v[112:113]
	v_add_f64_e64 v[183:184], v[112:113], -v[116:117]
	;; [unrolled: 1-line block ×3, first 2 shown]
	s_wait_loadcnt 0xd
	v_add_f64_e32 v[187:188], v[60:61], v[68:69]
	s_wait_loadcnt 0xb
	v_add_f64_e32 v[189:190], v[56:57], v[72:73]
	v_add_f64_e32 v[191:192], v[62:63], v[70:71]
	;; [unrolled: 1-line block ×3, first 2 shown]
	v_add_f64_e64 v[118:119], v[114:115], -v[118:119]
	v_add_f64_e64 v[195:196], v[76:77], -v[108:109]
	;; [unrolled: 1-line block ×4, first 2 shown]
	v_add_f64_e32 v[201:202], v[44:45], v[48:49]
	s_wait_loadcnt 0xa
	v_add_f64_e32 v[203:204], v[40:41], v[52:53]
	v_add_f64_e32 v[205:206], v[46:47], v[50:51]
	;; [unrolled: 1-line block ×3, first 2 shown]
	v_add_f64_e64 v[209:210], v[110:111], -v[78:79]
	s_mov_b32 s12, 0x134454ff
	s_mov_b32 s13, 0xbfee6f0e
	;; [unrolled: 1-line block ×4, first 2 shown]
	v_add_f64_e64 v[116:117], v[116:117], -v[76:77]
	v_add_f64_e64 v[211:212], v[102:103], -v[66:67]
	v_add_f64_e64 v[213:214], v[74:75], -v[58:59]
	v_fma_f64 v[163:164], v[163:164], -0.5, v[104:105]
	v_fma_f64 v[104:105], v[165:166], -0.5, v[104:105]
	;; [unrolled: 1-line block ×4, first 2 shown]
	v_add_f64_e32 v[169:170], v[52:53], v[80:81]
	v_fma_f64 v[173:174], v[173:174], -0.5, v[92:93]
	v_fma_f64 v[92:93], v[175:176], -0.5, v[92:93]
	;; [unrolled: 1-line block ×3, first 2 shown]
	v_add_f64_e32 v[177:178], v[54:55], v[82:83]
	v_add_f64_e32 v[151:152], v[112:113], v[151:152]
	;; [unrolled: 1-line block ×7, first 2 shown]
	v_add_f64_e64 v[114:115], v[114:115], -v[110:111]
	v_add_f64_e64 v[112:113], v[112:113], -v[108:109]
	;; [unrolled: 1-line block ×5, first 2 shown]
	v_fma_f64 v[94:95], v[179:180], -0.5, v[94:95]
	v_add_f64_e64 v[179:180], v[64:65], -v[84:85]
	v_fma_f64 v[187:188], v[187:188], -0.5, v[88:89]
	v_fma_f64 v[88:89], v[189:190], -0.5, v[88:89]
	;; [unrolled: 1-line block ×4, first 2 shown]
	v_add_f64_e64 v[191:192], v[84:85], -v[64:65]
	v_add_f64_e64 v[193:194], v[66:67], -v[86:87]
	v_fma_f64 v[201:202], v[201:202], -0.5, v[80:81]
	v_fma_f64 v[203:204], v[203:204], -0.5, v[80:81]
	v_add_f64_e64 v[215:216], v[40:41], -v[44:45]
	v_add_f64_e64 v[217:218], v[44:45], -v[40:41]
	s_mov_b32 s10, 0x4755a5e
	s_mov_b32 s11, 0xbfe2cf23
	;; [unrolled: 1-line block ×3, first 2 shown]
	s_wait_alu 0xfffe
	s_mov_b32 s4, s10
	v_add_f64_e64 v[219:220], v[42:43], -v[46:47]
	v_add_f64_e32 v[118:119], v[209:210], v[118:119]
	s_mov_b32 s14, 0x372fe950
	s_mov_b32 s15, 0x3fd3c6ef
	s_wait_loadcnt 0x1
	v_add_f64_e64 v[209:210], v[18:19], -v[6:7]
	s_mov_b32 s18, 0x9b97f4a8
	v_add_f64_e32 v[169:170], v[48:49], v[169:170]
	s_mov_b32 s19, 0x3fe9e377
	s_mov_b32 s23, 0xbfe9e377
	s_wait_alu 0xfffe
	s_mov_b32 s22, s18
	v_add_f64_e32 v[177:178], v[50:51], v[177:178]
	v_add_f64_e32 v[108:109], v[108:109], v[151:152]
	;; [unrolled: 1-line block ×7, first 2 shown]
	v_add_f64_e64 v[151:152], v[100:101], -v[96:97]
	v_add_f64_e64 v[153:154], v[96:97], -v[100:101]
	;; [unrolled: 1-line block ×5, first 2 shown]
	v_fma_f64 v[84:85], v[205:206], -0.5, v[82:83]
	v_fma_f64 v[82:83], v[207:208], -0.5, v[82:83]
	v_add_f64_e64 v[205:206], v[72:73], -v[68:69]
	v_add_f64_e64 v[207:208], v[68:69], -v[72:73]
	;; [unrolled: 1-line block ×3, first 2 shown]
	s_mov_b32 s21, 0xbfd3c6ef
	s_mov_b32 s20, s14
	v_add_f64_e32 v[167:168], v[193:194], v[167:168]
	s_load_b64 s[2:3], s[2:3], 0x0
	v_add_f64_e32 v[169:170], v[44:45], v[169:170]
	v_add_f64_e32 v[177:178], v[46:47], v[177:178]
	;; [unrolled: 1-line block ×4, first 2 shown]
	v_add_f64_e64 v[108:109], v[68:69], -v[60:61]
	v_add_f64_e64 v[110:111], v[56:57], -v[60:61]
	v_add_f64_e32 v[68:69], v[64:65], v[155:156]
	v_add_f64_e32 v[64:65], v[66:67], v[157:158]
	v_add_f64_e64 v[66:67], v[60:61], -v[56:57]
	v_add_f64_e64 v[155:156], v[58:59], -v[62:63]
	;; [unrolled: 1-line block ×3, first 2 shown]
	v_add_f64_e32 v[60:61], v[56:57], v[159:160]
	v_add_f64_e32 v[56:57], v[58:59], v[161:162]
	v_add_f64_e64 v[58:59], v[52:53], -v[48:49]
	v_add_f64_e64 v[159:160], v[48:49], -v[52:53]
	;; [unrolled: 1-line block ×12, first 2 shown]
	v_add_f64_e32 v[151:152], v[179:180], v[151:152]
	v_fma_f64 v[179:180], v[96:97], s[12:13], v[94:95]
	v_fma_f64 v[94:95], v[96:97], s[0:1], v[94:95]
	v_add_f64_e32 v[153:154], v[191:192], v[153:154]
	v_add_f64_e32 v[86:87], v[86:87], v[102:103]
	s_wait_loadcnt 0x0
	v_add_f64_e32 v[102:103], v[2:3], v[38:39]
	v_add_f64_e32 v[44:45], v[40:41], v[169:170]
	v_fma_f64 v[169:170], v[171:172], s[12:13], v[163:164]
	v_fma_f64 v[163:164], v[171:172], s[0:1], v[163:164]
	v_add_f64_e32 v[40:41], v[42:43], v[177:178]
	v_fma_f64 v[177:178], v[114:115], s[0:1], v[104:105]
	v_fma_f64 v[104:105], v[114:115], s[12:13], v[104:105]
	v_add_f64_e32 v[42:43], v[195:196], v[181:182]
	v_add_f64_e32 v[181:182], v[199:200], v[185:186]
	v_fma_f64 v[185:186], v[98:99], s[0:1], v[92:93]
	v_fma_f64 v[92:93], v[98:99], s[12:13], v[92:93]
	;; [unrolled: 1-line block ×6, first 2 shown]
	v_add_f64_e32 v[66:67], v[66:67], v[207:208]
	v_add_f64_e32 v[58:59], v[215:216], v[58:59]
	v_add_f64_e32 v[159:160], v[217:218], v[159:160]
	v_add_f64_e32 v[78:79], v[155:156], v[78:79]
	v_add_f64_e32 v[74:75], v[157:158], v[74:75]
	v_fma_f64 v[191:192], v[70:71], s[0:1], v[88:89]
	v_fma_f64 v[88:89], v[70:71], s[12:13], v[88:89]
	;; [unrolled: 1-line block ×3, first 2 shown]
	v_add_f64_e32 v[52:53], v[219:220], v[52:53]
	v_add_f64_e32 v[46:47], v[46:47], v[54:55]
	v_fma_f64 v[179:180], v[100:101], s[4:5], v[179:180]
	v_fma_f64 v[94:95], v[100:101], s[10:11], v[94:95]
	v_fma_f64 v[102:103], v[102:103], -0.5, v[34:35]
	v_fma_f64 v[169:170], v[114:115], s[10:11], v[169:170]
	v_fma_f64 v[114:115], v[114:115], s[4:5], v[163:164]
	v_add_f64_e32 v[163:164], v[197:198], v[183:184]
	v_fma_f64 v[183:184], v[112:113], s[12:13], v[106:107]
	v_fma_f64 v[177:178], v[171:172], s[10:11], v[177:178]
	;; [unrolled: 1-line block ×8, first 2 shown]
	v_add_f64_e32 v[195:196], v[0:1], v[36:37]
	v_fma_f64 v[185:186], v[211:212], s[10:11], v[185:186]
	v_fma_f64 v[92:93], v[211:212], s[4:5], v[92:93]
	;; [unrolled: 1-line block ×3, first 2 shown]
	v_add_f64_e32 v[189:190], v[8:9], v[24:25]
	v_fma_f64 v[157:158], v[72:73], s[4:5], v[193:194]
	v_fma_f64 v[193:194], v[50:51], s[12:13], v[203:204]
	v_fma_f64 v[72:73], v[72:73], s[10:11], v[90:91]
	v_fma_f64 v[90:91], v[161:162], s[0:1], v[84:85]
	v_fma_f64 v[84:85], v[161:162], s[12:13], v[84:85]
	v_add_f64_e64 v[203:204], v[24:25], -v[36:37]
	v_fma_f64 v[88:89], v[213:214], s[4:5], v[88:89]
	v_fma_f64 v[169:170], v[42:43], s[14:15], v[169:170]
	;; [unrolled: 1-line block ×13, first 2 shown]
	v_add_f64_e32 v[100:101], v[110:111], v[205:206]
	v_fma_f64 v[92:93], v[153:154], s[14:15], v[92:93]
	v_add_f64_e64 v[205:206], v[8:9], -v[0:1]
	v_fma_f64 v[157:158], v[74:75], s[14:15], v[157:158]
	v_fma_f64 v[155:156], v[78:79], s[14:15], v[155:156]
	v_fma_f64 v[90:91], v[48:49], s[4:5], v[90:91]
	v_fma_f64 v[88:89], v[66:67], s[14:15], v[88:89]
	v_fma_f64 v[177:178], v[118:119], s[14:15], v[183:184]
	v_fma_f64 v[183:184], v[195:196], -0.5, v[32:33]
	v_add_f64_e64 v[195:196], v[10:11], -v[2:3]
	v_fma_f64 v[163:164], v[181:182], s[14:15], v[171:172]
	v_fma_f64 v[112:113], v[181:182], s[14:15], v[112:113]
	;; [unrolled: 1-line block ×8, first 2 shown]
	v_add_f64_e32 v[175:176], v[10:11], v[26:27]
	v_fma_f64 v[106:107], v[118:119], s[14:15], v[106:107]
	v_fma_f64 v[181:182], v[153:154], s[14:15], v[185:186]
	v_fma_f64 v[153:154], v[189:190], -0.5, v[32:33]
	v_add_f64_e64 v[185:186], v[38:39], -v[2:3]
	v_add_f64_e64 v[189:190], v[2:3], -v[10:11]
	v_add_f64_e32 v[32:33], v[36:37], v[32:33]
	v_fma_f64 v[118:119], v[151:152], s[14:15], v[165:166]
	v_add_f64_e64 v[165:166], v[24:25], -v[8:9]
	v_fma_f64 v[110:111], v[70:71], s[10:11], v[173:174]
	v_fma_f64 v[70:71], v[70:71], s[4:5], v[187:188]
	v_fma_f64 v[173:174], v[213:214], s[10:11], v[191:192]
	v_fma_f64 v[187:188], v[48:49], s[12:13], v[82:83]
	v_fma_f64 v[82:83], v[48:49], s[0:1], v[82:83]
	v_fma_f64 v[191:192], v[62:63], s[12:13], v[201:202]
	v_fma_f64 v[171:172], v[175:176], -0.5, v[34:35]
	v_add_f64_e64 v[175:176], v[36:37], -v[0:1]
	v_fma_f64 v[98:99], v[151:152], s[14:15], v[98:99]
	v_fma_f64 v[151:152], v[86:87], s[14:15], v[179:180]
	;; [unrolled: 1-line block ×3, first 2 shown]
	v_add_f64_e32 v[179:180], v[12:13], v[20:21]
	v_fma_f64 v[116:117], v[167:168], s[14:15], v[116:117]
	v_fma_f64 v[96:97], v[167:168], s[14:15], v[96:97]
	v_add_f64_e64 v[167:168], v[38:39], -v[26:27]
	v_fma_f64 v[48:49], v[48:49], s[10:11], v[84:85]
	v_fma_f64 v[201:202], v[74:75], s[14:15], v[72:73]
	v_add_f64_e32 v[34:35], v[38:39], v[34:35]
	v_add_f64_e32 v[32:33], v[24:25], v[32:33]
	v_fma_f64 v[110:111], v[100:101], s[14:15], v[110:111]
	v_fma_f64 v[100:101], v[100:101], s[14:15], v[70:71]
	v_add_f64_e32 v[70:71], v[4:5], v[16:17]
	v_fma_f64 v[54:55], v[161:162], s[4:5], v[187:188]
	v_fma_f64 v[82:83], v[161:162], s[10:11], v[82:83]
	;; [unrolled: 1-line block ×4, first 2 shown]
	v_add_f64_e64 v[187:188], v[26:27], -v[10:11]
	v_fma_f64 v[50:51], v[50:51], s[4:5], v[199:200]
	v_fma_f64 v[62:63], v[62:63], s[4:5], v[193:194]
	;; [unrolled: 1-line block ×4, first 2 shown]
	v_add_f64_e32 v[191:192], v[14:15], v[22:23]
	v_fma_f64 v[171:172], v[175:176], s[12:13], v[171:172]
	v_add_f64_e64 v[193:194], v[26:27], -v[38:39]
	v_fma_f64 v[197:198], v[165:166], s[12:13], v[102:103]
	v_fma_f64 v[102:103], v[165:166], s[0:1], v[102:103]
	;; [unrolled: 1-line block ×3, first 2 shown]
	v_add_f64_e64 v[108:109], v[36:37], -v[24:25]
	v_fma_f64 v[179:180], v[179:180], -0.5, v[28:29]
	v_mul_f64_e32 v[72:73], s[10:11], v[116:117]
	v_mul_f64_e32 v[74:75], s[12:13], v[151:152]
	v_fma_f64 v[38:39], v[52:53], s[14:15], v[90:91]
	v_add_f64_e64 v[90:91], v[22:23], -v[14:15]
	v_fma_f64 v[48:49], v[52:53], s[14:15], v[48:49]
	v_mul_f64_e32 v[52:53], s[22:23], v[96:97]
	v_mul_f64_e32 v[78:79], s[12:13], v[86:87]
	;; [unrolled: 1-line block ×3, first 2 shown]
	v_add_f64_e32 v[26:27], v[26:27], v[34:35]
	v_add_f64_e64 v[24:25], v[80:81], -v[68:69]
	v_add_f64_e32 v[32:33], v[8:9], v[32:33]
	v_fma_f64 v[70:71], v[70:71], -0.5, v[28:29]
	v_fma_f64 v[54:55], v[46:47], s[14:15], v[54:55]
	v_fma_f64 v[46:47], v[46:47], s[14:15], v[82:83]
	;; [unrolled: 1-line block ×4, first 2 shown]
	v_add_f64_e32 v[94:95], v[6:7], v[18:19]
	v_add_f64_e64 v[161:162], v[0:1], -v[8:9]
	v_fma_f64 v[207:208], v[187:188], s[0:1], v[183:184]
	v_fma_f64 v[50:51], v[58:59], s[14:15], v[50:51]
	;; [unrolled: 1-line block ×4, first 2 shown]
	v_add_f64_e32 v[62:63], v[189:190], v[167:168]
	v_fma_f64 v[167:168], v[187:188], s[12:13], v[183:184]
	v_fma_f64 v[66:67], v[165:166], s[4:5], v[66:67]
	v_add_f64_e32 v[28:29], v[16:17], v[28:29]
	v_fma_f64 v[159:160], v[191:192], -0.5, v[30:31]
	v_fma_f64 v[165:166], v[165:166], s[10:11], v[171:172]
	v_add_f64_e32 v[171:172], v[18:19], v[30:31]
	v_add_f64_e64 v[183:184], v[16:17], -v[4:5]
	v_add_f64_e32 v[189:190], v[195:196], v[193:194]
	v_fma_f64 v[191:192], v[175:176], s[4:5], v[197:198]
	v_fma_f64 v[102:103], v[175:176], s[10:11], v[102:103]
	;; [unrolled: 1-line block ×3, first 2 shown]
	v_mul_f64_e32 v[175:176], s[10:11], v[96:97]
	v_add_f64_e32 v[96:97], v[205:206], v[203:204]
	v_mul_f64_e32 v[195:196], s[0:1], v[181:182]
	v_fma_f64 v[197:198], v[209:210], s[12:13], v[179:180]
	v_fma_f64 v[179:180], v[209:210], s[0:1], v[179:180]
	v_mul_f64_e32 v[193:194], s[4:5], v[118:119]
	v_fma_f64 v[72:73], v[118:119], s[18:19], v[72:73]
	v_fma_f64 v[74:75], v[181:182], s[14:15], v[74:75]
	v_add_f64_e64 v[118:119], v[16:17], -v[20:21]
	v_add_f64_e64 v[181:182], v[4:5], -v[12:13]
	;; [unrolled: 1-line block ×4, first 2 shown]
	v_fma_f64 v[52:53], v[98:99], s[4:5], v[52:53]
	v_fma_f64 v[78:79], v[92:93], s[20:21], v[78:79]
	;; [unrolled: 1-line block ×5, first 2 shown]
	v_add_f64_e32 v[16:17], v[68:69], v[80:81]
	v_add_f64_e64 v[68:69], v[22:23], -v[18:19]
	v_add_f64_e64 v[80:81], v[14:15], -v[6:7]
	v_fma_f64 v[30:31], v[94:95], -0.5, v[30:31]
	v_add_f64_e32 v[94:95], v[161:162], v[108:109]
	v_fma_f64 v[161:162], v[185:186], s[10:11], v[207:208]
	v_add_f64_e64 v[108:109], v[20:21], -v[12:13]
	v_fma_f64 v[58:59], v[187:188], s[10:11], v[58:59]
	v_add_f64_e64 v[207:208], v[6:7], -v[14:15]
	v_fma_f64 v[167:168], v[185:186], s[4:5], v[167:168]
	v_fma_f64 v[185:186], v[62:63], s[14:15], v[66:67]
	v_add_f64_e32 v[20:21], v[20:21], v[28:29]
	v_fma_f64 v[62:63], v[62:63], s[14:15], v[165:166]
	v_add_f64_e32 v[28:29], v[22:23], v[171:172]
	v_fma_f64 v[171:172], v[183:184], s[0:1], v[159:160]
	v_fma_f64 v[66:67], v[183:184], s[12:13], v[159:160]
	;; [unrolled: 1-line block ×6, first 2 shown]
	v_mul_f64_e32 v[175:176], s[10:11], v[38:39]
	v_mul_f64_e32 v[189:190], s[12:13], v[46:47]
	v_fma_f64 v[151:152], v[151:152], s[14:15], v[195:196]
	v_fma_f64 v[191:192], v[90:91], s[10:11], v[197:198]
	v_fma_f64 v[90:91], v[90:91], s[4:5], v[179:180]
	v_mul_f64_e32 v[179:180], s[0:1], v[84:85]
	v_mul_f64_e32 v[195:196], s[10:11], v[48:49]
	v_add_f64_e64 v[187:188], v[18:19], -v[22:23]
	v_fma_f64 v[116:117], v[116:117], s[18:19], v[193:194]
	v_add_f64_e32 v[118:119], v[181:182], v[118:119]
	v_add_f64_e32 v[193:194], v[205:206], v[203:204]
	v_mul_f64_e32 v[181:182], s[4:5], v[82:83]
	v_mul_f64_e32 v[46:47], s[20:21], v[46:47]
	;; [unrolled: 1-line block ×3, first 2 shown]
	v_fma_f64 v[34:35], v[209:210], s[10:11], v[34:35]
	v_fma_f64 v[70:71], v[209:210], s[4:5], v[70:71]
	v_add_f64_e32 v[205:206], v[10:11], v[26:27]
	v_add_f64_e32 v[8:9], v[114:115], v[74:75]
	;; [unrolled: 1-line block ×3, first 2 shown]
	v_add_f64_e64 v[26:27], v[104:105], -v[78:79]
	v_add_f64_e32 v[78:79], v[80:81], v[68:69]
	v_fma_f64 v[98:99], v[96:97], s[14:15], v[161:162]
	v_mul_f64_e32 v[161:162], s[12:13], v[54:55]
	v_fma_f64 v[92:93], v[108:109], s[12:13], v[30:31]
	v_fma_f64 v[58:59], v[94:95], s[14:15], v[58:59]
	;; [unrolled: 1-line block ×4, first 2 shown]
	v_mul_f64_e32 v[203:204], s[10:11], v[185:186]
	v_add_f64_e32 v[20:21], v[12:13], v[20:21]
	v_add_f64_e32 v[18:19], v[169:170], v[72:73]
	v_add_f64_e64 v[12:13], v[169:170], -v[72:73]
	v_add_f64_e32 v[197:198], v[14:15], v[28:29]
	v_fma_f64 v[171:172], v[108:109], s[4:5], v[171:172]
	v_fma_f64 v[66:67], v[108:109], s[10:11], v[66:67]
	v_mul_f64_e32 v[108:109], s[12:13], v[159:160]
	v_mul_f64_e32 v[167:168], s[12:13], v[102:103]
	v_fma_f64 v[94:95], v[94:95], s[14:15], v[153:154]
	v_mul_f64_e32 v[153:154], s[10:11], v[62:63]
	v_add_f64_e32 v[22:23], v[42:43], v[165:166]
	v_add_f64_e64 v[28:29], v[42:43], -v[165:166]
	v_fma_f64 v[42:43], v[82:83], s[18:19], v[175:176]
	v_add_f64_e64 v[14:15], v[114:115], -v[74:75]
	v_mul_f64_e32 v[62:63], s[22:23], v[62:63]
	v_fma_f64 v[165:166], v[54:55], s[14:15], v[179:180]
	v_fma_f64 v[54:55], v[50:51], s[22:23], v[195:196]
	v_add_f64_e32 v[187:188], v[207:208], v[187:188]
	v_mul_f64_e32 v[102:103], s[20:21], v[102:103]
	v_fma_f64 v[175:176], v[118:119], s[14:15], v[191:192]
	v_fma_f64 v[118:119], v[118:119], s[14:15], v[90:91]
	;; [unrolled: 1-line block ×7, first 2 shown]
	v_add_f64_e64 v[68:69], v[177:178], -v[151:152]
	v_add_f64_e32 v[70:71], v[177:178], v[151:152]
	v_add_f64_e32 v[50:51], v[163:164], v[116:117]
	;; [unrolled: 1-line block ×4, first 2 shown]
	v_mul_f64_e32 v[104:105], s[0:1], v[98:99]
	v_fma_f64 v[114:115], v[84:85], s[14:15], v[161:162]
	v_fma_f64 v[161:162], v[36:37], s[20:21], v[189:190]
	v_fma_f64 v[80:81], v[183:184], s[4:5], v[92:93]
	v_mul_f64_e32 v[92:93], s[4:5], v[58:59]
	v_fma_f64 v[30:31], v[183:184], s[10:11], v[30:31]
	v_add_f64_e32 v[183:184], v[0:1], v[32:33]
	v_add_f64_e32 v[20:21], v[4:5], v[20:21]
	v_fma_f64 v[58:59], v[58:59], s[18:19], v[203:204]
	v_add_f64_e32 v[0:1], v[44:45], v[60:61]
	v_add_f64_e32 v[181:182], v[6:7], v[197:198]
	v_add_f64_e64 v[32:33], v[60:61], -v[44:45]
	v_add_f64_e64 v[76:77], v[76:77], -v[64:65]
	v_fma_f64 v[98:99], v[98:99], s[14:15], v[108:109]
	v_fma_f64 v[108:109], v[96:97], s[20:21], v[167:168]
	v_add_f64_e32 v[167:168], v[2:3], v[205:206]
	v_fma_f64 v[153:154], v[94:95], s[22:23], v[153:154]
	v_add_f64_e32 v[72:73], v[106:107], v[86:87]
	v_add_f64_e32 v[82:83], v[40:41], v[56:57]
	;; [unrolled: 1-line block ×3, first 2 shown]
	v_add_f64_e64 v[34:35], v[110:111], -v[42:43]
	v_fma_f64 v[189:190], v[94:95], s[4:5], v[62:63]
	s_mov_b32 s10, 0xe8584caa
	v_add_f64_e64 v[44:45], v[100:101], -v[54:55]
	v_fma_f64 v[171:172], v[187:188], s[14:15], v[171:172]
	v_fma_f64 v[187:188], v[187:188], s[14:15], v[66:67]
	v_add_f64_e64 v[66:67], v[163:164], -v[116:117]
	v_fma_f64 v[102:103], v[96:97], s[0:1], v[102:103]
	v_add_f64_e32 v[84:85], v[155:156], v[38:39]
	v_add_f64_e64 v[110:111], v[155:156], -v[38:39]
	v_add_f64_e64 v[151:152], v[201:202], -v[46:47]
	s_mov_b32 s11, 0xbfebb67a
	s_mov_b32 s5, 0x3febb67a
	s_wait_alu 0xfffe
	s_mov_b32 s4, s10
	v_cmp_gt_u32_e64 s0, 60, v120
	v_fma_f64 v[104:105], v[159:160], s[14:15], v[104:105]
	v_add_f64_e32 v[4:5], v[173:174], v[114:115]
	v_add_f64_e32 v[6:7], v[88:89], v[161:162]
	v_add_f64_e64 v[36:37], v[173:174], -v[114:115]
	v_fma_f64 v[177:178], v[185:186], s[18:19], v[92:93]
	v_fma_f64 v[185:186], v[78:79], s[14:15], v[30:31]
	v_add_f64_e32 v[30:31], v[100:101], v[54:55]
	v_add_f64_e64 v[42:43], v[88:89], -v[161:162]
	v_fma_f64 v[116:117], v[78:79], s[14:15], v[80:81]
	v_add_f64_e64 v[80:81], v[112:113], -v[52:53]
	v_add_f64_e32 v[52:53], v[183:184], v[20:21]
	v_add_f64_e32 v[54:55], v[175:176], v[58:59]
	v_add_f64_e64 v[92:93], v[20:21], -v[183:184]
	v_add_f64_e32 v[62:63], v[90:91], v[98:99]
	v_add_f64_e32 v[64:65], v[179:180], v[108:109]
	v_add_f64_e64 v[60:61], v[90:91], -v[98:99]
	v_add_f64_e32 v[90:91], v[118:119], v[153:154]
	v_add_f64_e64 v[58:59], v[175:176], -v[58:59]
	v_add_f64_e64 v[94:95], v[179:180], -v[108:109]
	;; [unrolled: 1-line block ×3, first 2 shown]
	v_mul_u32_u24_e32 v20, 10, v120
	v_add_f64_e64 v[78:79], v[106:107], -v[86:87]
	v_add_f64_e32 v[86:87], v[157:158], v[165:166]
	v_add_f64_e32 v[88:89], v[201:202], v[46:47]
	;; [unrolled: 1-line block ×3, first 2 shown]
	v_lshl_add_u32 v98, v20, 3, 0
	v_mul_i32_i24_e32 v20, 10, v130
	v_add_f64_e64 v[108:109], v[56:57], -v[40:41]
	v_add_f64_e64 v[112:113], v[157:158], -v[165:166]
	v_add_f64_e32 v[155:156], v[167:168], v[181:182]
	v_add_f64_e64 v[165:166], v[181:182], -v[167:168]
	ds_store_b128 v98, v[16:19]
	ds_store_b128 v98, v[8:11] offset:16
	v_mul_i32_i24_e32 v8, 10, v137
	v_lshl_add_u32 v182, v20, 3, 0
	ds_store_b128 v98, v[22:25] offset:32
	ds_store_b128 v98, v[12:15] offset:48
	ds_store_b128 v98, v[26:29] offset:64
	v_mad_i32_i24 v179, 0xffffffb8, v120, v98
	v_add_f64_e64 v[153:154], v[199:200], -v[169:170]
	v_lshl_add_u32 v183, v8, 3, 0
	ds_store_b128 v182, v[0:3]
	ds_store_b128 v182, v[4:7] offset:16
	ds_store_b128 v182, v[30:33] offset:32
	;; [unrolled: 1-line block ×4, first 2 shown]
	ds_store_b128 v183, v[52:55]
	ds_store_b128 v183, v[62:65] offset:16
	ds_store_b128 v183, v[90:93] offset:32
	;; [unrolled: 1-line block ×4, first 2 shown]
	v_and_b32_e32 v60, 0xff, v120
	v_add_f64_e32 v[159:160], v[116:117], v[104:105]
	v_add_f64_e32 v[163:164], v[187:188], v[189:190]
	v_add_f64_e64 v[169:170], v[116:117], -v[104:105]
	v_add_f64_e64 v[173:174], v[187:188], -v[189:190]
	v_mul_lo_u16 v60, 0xcd, v60
	v_add_nc_u32_e32 v119, 0x2800, v179
	v_add_nc_u32_e32 v189, 0x3800, v179
	v_lshl_add_u32 v180, v149, 3, 0
	v_add_nc_u32_e32 v187, 0x4800, v179
	v_add_nc_u32_e32 v101, 0x100, v179
	v_mad_i32_i24 v127, 0xffffffb8, v130, v182
	v_and_b32_e32 v105, 0xff, v130
	v_lshrrev_b16 v115, 11, v60
	v_add_f64_e32 v[157:158], v[171:172], v[177:178]
	v_add_f64_e32 v[161:162], v[185:186], v[102:103]
	v_add_f64_e64 v[167:168], v[171:172], -v[177:178]
	v_add_f64_e64 v[171:172], v[185:186], -v[102:103]
	v_lshl_add_u32 v181, v132, 3, 0
	v_add_nc_u32_e32 v186, 0x3000, v179
	v_mad_i32_i24 v129, 0xffffffb8, v137, v183
	v_add_nc_u32_e32 v104, 0x4c00, v179
	v_add_nc_u32_e32 v103, 0x1400, v179
	v_lshl_add_u32 v184, v145, 3, 0
	v_add_nc_u32_e32 v100, 0x2000, v179
	v_lshl_add_u32 v185, v147, 3, 0
	v_add_nc_u32_e32 v102, 0x4000, v179
	v_add_nc_u32_e32 v134, 0x3400, v179
	global_wb scope:SCOPE_SE
	s_wait_dscnt 0x0
	s_wait_kmcnt 0x0
	s_barrier_signal -1
	s_barrier_wait -1
	global_inv scope:SCOPE_SE
	ds_load_2addr_stride64_b64 v[0:3], v179 offset1:9
	ds_load_2addr_b64 v[16:19], v119 offset0:64 offset1:160
	ds_load_2addr_b64 v[44:47], v189 offset0:128 offset1:224
	ds_load_2addr_b64 v[4:7], v187 offset1:96
	ds_load_2addr_stride64_b64 v[24:27], v101 offset0:13 offset1:16
	ds_load_2addr_b64 v[40:43], v186 offset1:96
	ds_load_2addr_b64 v[36:39], v104 offset0:64 offset1:160
	ds_load_b64 v[54:55], v127
	ds_load_b64 v[52:53], v129
	ds_load_2addr_b64 v[32:35], v103 offset0:32 offset1:128
	ds_load_2addr_b64 v[28:31], v100 offset0:128 offset1:224
	;; [unrolled: 1-line block ×3, first 2 shown]
	v_add_nc_u32_e32 v188, 0x5000, v179
	ds_load_b64 v[64:65], v180
	ds_load_b64 v[62:63], v181
	;; [unrolled: 1-line block ×4, first 2 shown]
	ds_load_2addr_b64 v[12:15], v134 offset0:64 offset1:160
	ds_load_2addr_b64 v[8:11], v188 offset0:128 offset1:224
	global_wb scope:SCOPE_SE
	s_wait_dscnt 0x0
	s_barrier_signal -1
	s_barrier_wait -1
	v_mul_lo_u16 v60, 0xcd, v105
	global_inv scope:SCOPE_SE
	ds_store_b128 v98, v[48:51]
	ds_store_b128 v98, v[70:73] offset:16
	v_mul_lo_u16 v48, v115, 10
	ds_store_b128 v98, v[74:77] offset:32
	ds_store_b128 v98, v[66:69] offset:48
	;; [unrolled: 1-line block ×3, first 2 shown]
	v_lshrrev_b16 v117, 11, v60
	ds_store_b128 v182, v[82:85]
	ds_store_b128 v182, v[86:89] offset:16
	ds_store_b128 v182, v[106:109] offset:32
	;; [unrolled: 1-line block ×3, first 2 shown]
	v_and_b32_e32 v108, 0xffff, v137
	v_sub_nc_u16 v48, v120, v48
	ds_store_b128 v182, v[151:154] offset:64
	ds_store_b128 v183, v[155:158]
	ds_store_b128 v183, v[159:162] offset:16
	v_mul_lo_u16 v49, v117, 10
	ds_store_b128 v183, v[163:166] offset:32
	ds_store_b128 v183, v[167:170] offset:48
	;; [unrolled: 1-line block ×3, first 2 shown]
	global_wb scope:SCOPE_SE
	s_wait_dscnt 0x0
	v_and_b32_e32 v114, 0xff, v48
	s_barrier_signal -1
	v_sub_nc_u16 v48, v130, v49
	s_barrier_wait -1
	global_inv scope:SCOPE_SE
	v_mul_u32_u24_e32 v49, 5, v114
	v_and_b32_e32 v107, 0xffff, v145
	v_and_b32_e32 v116, 0xff, v48
	;; [unrolled: 1-line block ×4, first 2 shown]
	v_lshlrev_b32_e32 v136, 4, v49
	v_mul_u32_u24_e32 v49, 0xcccd, v108
	v_mul_u32_u24_e32 v48, 5, v116
	v_and_b32_e32 v117, 0xffff, v117
	v_mul_u32_u24_e32 v115, 0x1e0, v115
	global_load_b128 v[68:71], v136, s[8:9] offset:48
	v_lshrrev_b32_e32 v118, 19, v49
	v_lshlrev_b32_e32 v140, 4, v48
	v_mul_u32_u24_e32 v49, 0xcccd, v107
	v_lshlrev_b32_e32 v114, 3, v114
	v_mul_u32_u24_e32 v117, 0x1e0, v117
	v_mul_lo_u16 v48, v118, 10
	global_load_b128 v[72:75], v140, s[8:9] offset:48
	v_lshrrev_b32_e32 v112, 19, v49
	v_lshlrev_b32_e32 v116, 3, v116
	v_mul_u32_u24_e32 v118, 0x1e0, v118
	v_sub_nc_u16 v48, v137, v48
	s_delay_alu instid0(VALU_DEP_4) | instskip(NEXT) | instid1(VALU_DEP_2)
	v_mul_lo_u16 v49, v112, 10
	v_and_b32_e32 v109, 0xffff, v48
	s_delay_alu instid0(VALU_DEP_2) | instskip(NEXT) | instid1(VALU_DEP_2)
	v_sub_nc_u16 v49, v145, v49
	v_mul_u32_u24_e32 v48, 5, v109
	v_lshlrev_b32_e32 v109, 3, v109
	s_delay_alu instid0(VALU_DEP_3) | instskip(NEXT) | instid1(VALU_DEP_3)
	v_and_b32_e32 v113, 0xffff, v49
	v_lshlrev_b32_e32 v48, 4, v48
	s_clause 0x4
	global_load_b128 v[76:79], v140, s[8:9] offset:32
	global_load_b128 v[82:85], v48, s[8:9] offset:32
	;; [unrolled: 1-line block ×4, first 2 shown]
	global_load_b128 v[94:97], v48, s[8:9]
	v_mul_u32_u24_e32 v49, 5, v113
	s_delay_alu instid0(VALU_DEP_1)
	v_lshlrev_b32_e32 v218, 4, v49
	s_clause 0x4
	global_load_b128 v[151:154], v218, s[8:9]
	global_load_b128 v[155:158], v48, s[8:9] offset:16
	global_load_b128 v[159:162], v218, s[8:9] offset:16
	;; [unrolled: 1-line block ×4, first 2 shown]
	v_mul_u32_u24_e32 v48, 0xcccd, v106
	global_load_b128 v[171:174], v140, s[8:9] offset:16
	ds_load_2addr_b64 v[175:178], v189 offset0:128 offset1:224
	v_lshrrev_b32_e32 v110, 19, v48
	s_delay_alu instid0(VALU_DEP_1) | instskip(NEXT) | instid1(VALU_DEP_1)
	v_mul_lo_u16 v48, v110, 10
	v_sub_nc_u16 v48, v147, v48
	s_delay_alu instid0(VALU_DEP_1) | instskip(NEXT) | instid1(VALU_DEP_1)
	v_and_b32_e32 v111, 0xffff, v48
	v_mul_u32_u24_e32 v48, 5, v111
	v_lshlrev_b32_e32 v111, 3, v111
	s_delay_alu instid0(VALU_DEP_2)
	v_lshlrev_b32_e32 v219, 4, v48
	s_clause 0x2
	global_load_b128 v[190:193], v219, s[8:9]
	global_load_b128 v[194:197], v136, s[8:9] offset:32
	global_load_b128 v[48:51], v219, s[8:9] offset:16
	ds_load_2addr_b64 v[198:201], v186 offset1:96
	ds_load_2addr_b64 v[202:205], v104 offset0:64 offset1:160
	s_clause 0x1
	global_load_b128 v[210:213], v218, s[8:9] offset:32
	global_load_b128 v[214:217], v136, s[8:9] offset:16
	s_wait_loadcnt_dscnt 0x1102
	v_mul_f64_e32 v[60:61], v[175:176], v[70:71]
	v_mul_f64_e32 v[70:71], v[44:45], v[70:71]
	s_wait_loadcnt 0x10
	v_mul_f64_e32 v[80:81], v[177:178], v[74:75]
	v_mul_f64_e32 v[74:75], v[46:47], v[74:75]
	s_wait_loadcnt 0xf
	v_mul_f64_e32 v[206:207], v[40:41], v[78:79]
	s_wait_dscnt 0x1
	v_mul_f64_e32 v[98:99], v[198:199], v[78:79]
	v_fma_f64 v[66:67], v[44:45], v[68:69], v[60:61]
	v_fma_f64 v[60:61], v[175:176], v[68:69], -v[70:71]
	s_wait_loadcnt 0xe
	v_mul_f64_e32 v[68:69], v[200:201], v[84:85]
	v_mul_f64_e32 v[84:85], v[42:43], v[84:85]
	v_fma_f64 v[46:47], v[46:47], v[72:73], v[80:81]
	v_fma_f64 v[44:45], v[177:178], v[72:73], -v[74:75]
	global_load_b128 v[175:178], v136, s[8:9]
	s_wait_loadcnt_dscnt 0xe00
	v_mul_f64_e32 v[72:73], v[202:203], v[88:89]
	v_mul_f64_e32 v[74:75], v[36:37], v[88:89]
	s_wait_loadcnt 0xc
	v_mul_f64_e32 v[88:89], v[32:33], v[96:97]
	v_fma_f64 v[70:71], v[198:199], v[76:77], -v[206:207]
	global_load_b128 v[206:209], v136, s[8:9] offset:64
	v_fma_f64 v[78:79], v[40:41], v[76:77], v[98:99]
	v_mul_f64_e32 v[76:77], v[38:39], v[92:93]
	s_wait_loadcnt 0xa
	v_mul_f64_e32 v[98:99], v[30:31], v[161:162]
	v_fma_f64 v[80:81], v[42:43], v[82:83], v[68:69]
	v_mul_f64_e32 v[42:43], v[204:205], v[92:93]
	v_fma_f64 v[68:69], v[200:201], v[82:83], -v[84:85]
	ds_load_2addr_b64 v[198:201], v103 offset0:32 offset1:128
	v_fma_f64 v[82:83], v[36:37], v[86:87], v[72:73]
	v_fma_f64 v[40:41], v[202:203], v[86:87], -v[74:75]
	s_wait_dscnt 0x0
	v_mul_f64_e32 v[84:85], v[198:199], v[96:97]
	v_fma_f64 v[72:73], v[198:199], v[94:95], -v[88:89]
	v_fma_f64 v[36:37], v[204:205], v[90:91], -v[76:77]
	global_load_b128 v[202:205], v219, s[8:9] offset:32
	v_fma_f64 v[74:75], v[38:39], v[90:91], v[42:43]
	v_mul_f64_e32 v[38:39], v[200:201], v[153:154]
	v_mul_f64_e32 v[42:43], v[34:35], v[153:154]
	ds_load_2addr_b64 v[90:93], v100 offset0:128 offset1:224
	v_fma_f64 v[86:87], v[32:33], v[94:95], v[84:85]
	ds_load_2addr_b64 v[94:97], v102 offset0:64 offset1:160
	v_fma_f64 v[84:85], v[34:35], v[151:152], v[38:39]
	s_wait_dscnt 0x1
	v_mul_f64_e32 v[34:35], v[90:91], v[157:158]
	v_fma_f64 v[32:33], v[200:201], v[151:152], -v[42:43]
	v_mul_f64_e32 v[42:43], v[92:93], v[161:162]
	v_mul_f64_e32 v[38:39], v[28:29], v[157:158]
	global_load_b128 v[151:154], v219, s[8:9] offset:48
	v_fma_f64 v[88:89], v[28:29], v[155:156], v[34:35]
	s_wait_loadcnt_dscnt 0xb00
	v_mul_f64_e32 v[28:29], v[94:95], v[165:166]
	v_fma_f64 v[34:35], v[30:31], v[159:160], v[42:43]
	v_mul_f64_e32 v[30:31], v[20:21], v[165:166]
	v_fma_f64 v[76:77], v[90:91], v[155:156], -v[38:39]
	v_fma_f64 v[38:39], v[92:93], v[159:160], -v[98:99]
	s_clause 0x1
	global_load_b128 v[159:162], v219, s[8:9] offset:64
	global_load_b128 v[155:158], v218, s[8:9] offset:64
	s_wait_loadcnt 0xc
	v_mul_f64_e32 v[42:43], v[96:97], v[169:170]
	v_mul_f64_e32 v[92:93], v[22:23], v[169:170]
	s_wait_loadcnt 0xa
	v_mul_f64_e32 v[169:170], v[24:25], v[192:193]
	v_fma_f64 v[90:91], v[20:21], v[163:164], v[28:29]
	v_fma_f64 v[28:29], v[94:95], v[163:164], -v[30:31]
	ds_load_2addr_stride64_b64 v[163:166], v101 offset0:13 offset1:16
	v_fma_f64 v[42:43], v[22:23], v[167:168], v[42:43]
	global_load_b128 v[20:23], v140, s[8:9]
	v_fma_f64 v[30:31], v[96:97], v[167:168], -v[92:93]
	v_mul_f64_e32 v[92:93], v[26:27], v[173:174]
	ds_load_2addr_b64 v[96:99], v119 offset0:64 offset1:160
	v_mul_u32_u24_e32 v136, 0x1e0, v112
	v_lshlrev_b32_e32 v140, 3, v113
	s_delay_alu instid0(VALU_DEP_1) | instskip(SKIP_3) | instid1(VALU_DEP_2)
	v_add3_u32 v140, 0, v136, v140
	s_wait_dscnt 0x1
	v_mul_f64_e32 v[94:95], v[165:166], v[173:174]
	v_mul_f64_e32 v[167:168], v[163:164], v[192:193]
	v_fma_f64 v[94:95], v[26:27], v[171:172], v[94:95]
	v_fma_f64 v[26:27], v[165:166], v[171:172], -v[92:93]
	s_delay_alu instid0(VALU_DEP_3)
	v_fma_f64 v[92:93], v[24:25], v[190:191], v[167:168]
	v_fma_f64 v[24:25], v[163:164], v[190:191], -v[169:170]
	s_wait_loadcnt_dscnt 0x900
	v_mul_f64_e32 v[167:168], v[96:97], v[50:51]
	v_mul_f64_e32 v[169:170], v[16:17], v[50:51]
	;; [unrolled: 1-line block ×4, first 2 shown]
	ds_load_b64 v[171:172], v180
	v_fma_f64 v[16:17], v[16:17], v[48:49], v[167:168]
	v_fma_f64 v[96:97], v[96:97], v[48:49], -v[169:170]
	v_fma_f64 v[190:191], v[18:19], v[194:195], v[163:164]
	v_fma_f64 v[18:19], v[98:99], v[194:195], -v[165:166]
	ds_load_b64 v[192:193], v181
	ds_load_b64 v[98:99], v184
	;; [unrolled: 1-line block ×3, first 2 shown]
	ds_load_2addr_b64 v[163:166], v187 offset1:96
	ds_load_2addr_b64 v[167:170], v134 offset0:64 offset1:160
	s_wait_loadcnt 0x6
	v_mul_f64_e32 v[173:174], v[64:65], v[177:178]
	s_wait_dscnt 0x5
	v_mul_f64_e32 v[177:178], v[171:172], v[177:178]
	s_wait_loadcnt 0x5
	v_mul_f64_e32 v[48:49], v[6:7], v[208:209]
	s_delay_alu instid0(VALU_DEP_3) | instskip(NEXT) | instid1(VALU_DEP_3)
	v_fma_f64 v[171:172], v[171:172], v[175:176], -v[173:174]
	v_fma_f64 v[173:174], v[64:65], v[175:176], v[177:178]
	s_wait_dscnt 0x1
	v_mul_f64_e32 v[64:65], v[165:166], v[208:209]
	s_wait_dscnt 0x0
	v_mul_f64_e32 v[175:176], v[167:168], v[212:213]
	v_mul_f64_e32 v[177:178], v[12:13], v[212:213]
	v_add3_u32 v212, 0, v118, v109
	v_mul_u32_u24_e32 v118, 0x1e0, v110
	v_fma_f64 v[48:49], v[165:166], v[206:207], -v[48:49]
	v_mul_f64_e32 v[165:166], v[192:193], v[216:217]
	v_fma_f64 v[194:195], v[6:7], v[206:207], v[64:65]
	s_wait_loadcnt 0x4
	v_mul_f64_e32 v[64:65], v[169:170], v[204:205]
	v_fma_f64 v[175:176], v[12:13], v[210:211], v[175:176]
	v_fma_f64 v[6:7], v[167:168], v[210:211], -v[177:178]
	v_mul_f64_e32 v[167:168], v[14:15], v[204:205]
	v_add_f64_e32 v[12:13], v[18:19], v[48:49]
	v_fma_f64 v[196:197], v[62:63], v[214:215], v[165:166]
	v_add_f64_e64 v[198:199], v[190:191], -v[194:195]
	v_fma_f64 v[177:178], v[14:15], v[202:203], v[64:65]
	v_mul_f64_e32 v[14:15], v[62:63], v[216:217]
	v_add_f64_e32 v[62:63], v[190:191], v[194:195]
	v_fma_f64 v[200:201], v[12:13], -0.5, v[171:172]
	v_fma_f64 v[12:13], v[169:170], v[202:203], -v[167:168]
	s_wait_loadcnt 0x3
	v_mul_f64_e32 v[169:170], v[163:164], v[153:154]
	v_mul_f64_e32 v[153:154], v[4:5], v[153:154]
	v_add_f64_e64 v[202:203], v[18:19], -v[48:49]
	ds_load_2addr_b64 v[165:168], v188 offset0:128 offset1:224
	v_add_f64_e32 v[206:207], v[0:1], v[196:197]
	v_add_f64_e32 v[18:19], v[171:172], v[18:19]
	;; [unrolled: 1-line block ×3, first 2 shown]
	v_fma_f64 v[192:193], v[192:193], v[214:215], -v[14:15]
	v_add_f64_e32 v[14:15], v[196:197], v[66:67]
	v_fma_f64 v[204:205], v[62:63], -0.5, v[173:174]
	v_add_f64_e32 v[173:174], v[173:174], v[190:191]
	s_wait_alu 0xfffe
	v_fma_f64 v[64:65], v[198:199], s[4:5], v[200:201]
	v_fma_f64 v[198:199], v[198:199], s[10:11], v[200:201]
	;; [unrolled: 1-line block ×3, first 2 shown]
	s_wait_loadcnt_dscnt 0x100
	v_mul_f64_e32 v[169:170], v[165:166], v[157:158]
	v_mul_f64_e32 v[157:158], v[8:9], v[157:158]
	v_fma_f64 v[4:5], v[163:164], v[151:152], -v[153:154]
	v_mul_f64_e32 v[163:164], v[167:168], v[161:162]
	ds_load_2addr_stride64_b64 v[151:154], v179 offset1:9
	v_add_f64_e32 v[200:201], v[70:71], v[40:41]
	v_add_f64_e32 v[18:19], v[18:19], v[48:49]
	v_add_f64_e64 v[190:191], v[192:193], -v[60:61]
	v_fma_f64 v[208:209], v[14:15], -0.5, v[0:1]
	v_fma_f64 v[14:15], v[202:203], s[10:11], v[204:205]
	v_fma_f64 v[202:203], v[202:203], s[4:5], v[204:205]
	v_mul_f64_e32 v[210:211], s[10:11], v[64:65]
	v_mul_f64_e32 v[204:205], s[10:11], v[198:199]
	v_mul_f64_e32 v[64:65], 0.5, v[64:65]
	v_fma_f64 v[8:9], v[8:9], v[155:156], v[169:170]
	v_fma_f64 v[0:1], v[165:166], v[155:156], -v[157:158]
	s_wait_loadcnt_dscnt 0x0
	v_mul_f64_e32 v[157:158], v[153:154], v[22:23]
	v_fma_f64 v[155:156], v[10:11], v[159:160], v[163:164]
	v_mul_f64_e32 v[10:11], v[10:11], v[161:162]
	v_add_f64_e32 v[161:162], v[173:174], v[194:195]
	v_add_f64_e32 v[163:164], v[206:207], v[66:67]
	v_mul_f64_e32 v[22:23], v[2:3], v[22:23]
	v_add_f64_e32 v[173:174], v[192:193], v[60:61]
	v_add_f64_e32 v[194:195], v[52:53], v[88:89]
	v_add_f64_e64 v[66:67], v[196:197], -v[66:67]
	v_add_f64_e32 v[196:197], v[68:69], v[36:37]
	v_mul_f64_e32 v[198:199], -0.5, v[198:199]
	v_fma_f64 v[165:166], v[190:191], s[10:11], v[208:209]
	v_fma_f64 v[190:191], v[190:191], s[4:5], v[208:209]
	v_fma_f64 v[169:170], v[14:15], 0.5, v[210:211]
	v_add3_u32 v210, 0, v115, v114
	v_add3_u32 v211, 0, v117, v116
	ds_load_b64 v[112:113], v127
	ds_load_b64 v[114:115], v129
	v_add_f64_e32 v[116:117], v[78:79], v[82:83]
	v_fma_f64 v[157:158], v[2:3], v[20:21], v[157:158]
	global_wb scope:SCOPE_SE
	s_wait_dscnt 0x0
	v_fma_f64 v[2:3], v[167:168], v[159:160], -v[10:11]
	s_barrier_signal -1
	v_add_f64_e32 v[10:11], v[163:164], v[161:162]
	v_fma_f64 v[20:21], v[153:154], v[20:21], -v[22:23]
	v_add_f64_e32 v[22:23], v[94:95], v[46:47]
	v_add_f64_e32 v[167:168], v[151:152], v[192:193]
	v_fma_f64 v[151:152], v[173:174], -0.5, v[151:152]
	v_add_f64_e32 v[173:174], v[54:55], v[94:95]
	s_barrier_wait -1
	global_inv scope:SCOPE_SE
	v_add_f64_e32 v[192:193], v[80:81], v[74:75]
	v_add_f64_e64 v[94:95], v[94:95], -v[46:47]
	v_fma_f64 v[196:197], v[196:197], -0.5, v[72:73]
	v_add_f64_e32 v[72:73], v[72:73], v[68:69]
	v_add_f64_e64 v[68:69], v[68:69], -v[36:37]
	v_fma_f64 v[204:205], v[202:203], -0.5, v[204:205]
	v_add_f64_e64 v[161:162], v[163:164], -v[161:162]
	v_fma_f64 v[14:15], v[14:15], s[4:5], v[64:65]
	v_add_f64_e32 v[159:160], v[165:166], v[169:170]
	v_add_f64_e64 v[165:166], v[165:166], -v[169:170]
	v_add_f64_e32 v[153:154], v[157:158], v[78:79]
	v_add_f64_e64 v[78:79], v[78:79], -v[82:83]
	v_fma_f64 v[116:117], v[116:117], -0.5, v[157:158]
	v_add_f64_e32 v[157:158], v[175:176], v[8:9]
	v_add_f64_e64 v[175:176], v[175:176], -v[8:9]
	v_add_f64_e32 v[8:9], v[171:172], v[8:9]
	v_fma_f64 v[22:23], v[22:23], -0.5, v[54:55]
	v_add_f64_e32 v[54:55], v[92:93], v[177:178]
	v_add_f64_e32 v[171:172], v[16:17], v[62:63]
	;; [unrolled: 1-line block ×4, first 2 shown]
	v_fma_f64 v[200:201], v[200:201], -0.5, v[20:21]
	v_add_f64_e32 v[20:21], v[20:21], v[70:71]
	v_add_f64_e64 v[70:71], v[70:71], -v[40:41]
	v_fma_f64 v[48:49], v[66:67], s[4:5], v[151:152]
	v_add_f64_e32 v[36:37], v[72:73], v[36:37]
	v_add_f64_e32 v[169:170], v[190:191], v[204:205]
	v_add_f64_e64 v[190:191], v[190:191], -v[204:205]
	ds_store_2addr_b64 v210, v[10:11], v[159:160] offset1:10
	v_add_f64_e32 v[10:11], v[86:87], v[80:81]
	v_add_f64_e32 v[159:160], v[88:89], v[90:91]
	v_add_f64_e64 v[80:81], v[80:81], -v[74:75]
	v_add_f64_e64 v[88:89], v[88:89], -v[90:91]
	v_add_f64_e32 v[82:83], v[153:154], v[82:83]
	v_add_f64_e32 v[153:154], v[177:178], v[155:156]
	v_fma_f64 v[86:87], v[192:193], -0.5, v[86:87]
	v_add_f64_e32 v[192:193], v[12:13], v[2:3]
	v_add_f64_e32 v[90:91], v[194:195], v[90:91]
	v_add_f64_e32 v[194:195], v[34:35], v[42:43]
	v_fma_f64 v[84:85], v[157:158], -0.5, v[84:85]
	v_add_f64_e64 v[157:158], v[26:27], -v[44:45]
	v_add_f64_e64 v[177:178], v[177:178], -v[155:156]
	v_add_f64_e32 v[54:55], v[54:55], v[155:156]
	v_add_f64_e64 v[155:156], v[76:77], -v[28:29]
	v_fma_f64 v[173:174], v[173:174], -0.5, v[32:33]
	v_fma_f64 v[171:172], v[171:172], -0.5, v[56:57]
	v_fma_f64 v[206:207], v[78:79], s[4:5], v[200:201]
	v_fma_f64 v[78:79], v[78:79], s[10:11], v[200:201]
	v_add_f64_e64 v[200:201], v[12:13], -v[2:3]
	v_fma_f64 v[163:164], v[70:71], s[10:11], v[116:117]
	v_fma_f64 v[70:71], v[70:71], s[4:5], v[116:117]
	v_add_f64_e32 v[56:57], v[56:57], v[16:17]
	ds_store_2addr_b64 v210, v[169:170], v[161:162] offset0:20 offset1:30
	ds_store_2addr_b64 v210, v[165:166], v[190:191] offset0:40 offset1:50
	v_add_f64_e64 v[16:17], v[16:17], -v[62:63]
	v_add_f64_e32 v[12:13], v[24:25], v[12:13]
	v_add_f64_e32 v[20:21], v[20:21], v[40:41]
	;; [unrolled: 1-line block ×4, first 2 shown]
	v_fma_f64 v[52:53], v[159:160], -0.5, v[52:53]
	v_add_f64_e32 v[159:160], v[76:77], v[28:29]
	v_add_f64_e32 v[26:27], v[112:113], v[26:27]
	v_fma_f64 v[92:93], v[153:154], -0.5, v[92:93]
	v_add_f64_e64 v[153:154], v[6:7], -v[0:1]
	v_add_f64_e32 v[76:77], v[114:115], v[76:77]
	v_fma_f64 v[192:193], v[192:193], -0.5, v[24:25]
	v_add_f64_e32 v[6:7], v[32:33], v[6:7]
	v_fma_f64 v[116:117], v[157:158], s[10:11], v[22:23]
	v_fma_f64 v[22:23], v[157:158], s[4:5], v[22:23]
	v_add_f64_e32 v[157:158], v[46:47], v[82:83]
	v_add_f64_e64 v[46:47], v[46:47], -v[82:83]
	v_fma_f64 v[82:83], v[80:81], s[4:5], v[196:197]
	v_fma_f64 v[80:81], v[80:81], s[10:11], v[196:197]
	v_mul_f64_e32 v[109:110], 0.5, v[206:207]
	v_mul_f64_e32 v[204:205], s[10:11], v[78:79]
	v_mul_f64_e32 v[78:79], -0.5, v[78:79]
	v_add_f64_e32 v[56:57], v[56:57], v[62:63]
	v_add_f64_e32 v[12:13], v[12:13], v[2:3]
	;; [unrolled: 1-line block ×3, first 2 shown]
	v_fma_f64 v[74:75], v[74:75], -0.5, v[112:113]
	v_add_f64_e64 v[112:113], v[38:39], -v[30:31]
	v_fma_f64 v[114:115], v[159:160], -0.5, v[114:115]
	v_fma_f64 v[159:160], v[194:195], -0.5, v[58:59]
	v_add_f64_e64 v[194:195], v[96:97], -v[4:5]
	v_fma_f64 v[196:197], v[155:156], s[10:11], v[52:53]
	v_fma_f64 v[52:53], v[155:156], s[4:5], v[52:53]
	v_fma_f64 v[155:156], v[175:176], s[4:5], v[173:174]
	v_fma_f64 v[173:174], v[175:176], s[10:11], v[173:174]
	v_fma_f64 v[175:176], v[177:178], s[4:5], v[192:193]
	v_fma_f64 v[177:178], v[177:178], s[10:11], v[192:193]
	v_fma_f64 v[192:193], v[68:69], s[10:11], v[86:87]
	v_fma_f64 v[68:69], v[68:69], s[4:5], v[86:87]
	v_add_f64_e32 v[58:59], v[58:59], v[34:35]
	v_add_f64_e64 v[10:11], v[90:91], -v[10:11]
	v_mul_f64_e32 v[190:191], s[10:11], v[82:83]
	v_mul_f64_e32 v[82:83], 0.5, v[82:83]
	v_fma_f64 v[204:205], v[70:71], -0.5, v[204:205]
	v_add_f64_e64 v[34:35], v[34:35], -v[42:43]
	v_add_f64_e32 v[26:27], v[26:27], v[44:45]
	v_fma_f64 v[40:41], v[163:164], s[4:5], v[109:110]
	v_fma_f64 v[62:63], v[70:71], s[4:5], v[78:79]
	v_add_f64_e32 v[28:29], v[76:77], v[28:29]
	v_add_f64_e32 v[6:7], v[6:7], v[0:1]
	v_fma_f64 v[44:45], v[94:95], s[4:5], v[74:75]
	v_fma_f64 v[64:65], v[88:89], s[4:5], v[114:115]
	;; [unrolled: 1-line block ×10, first 2 shown]
	v_mul_f64_e32 v[200:201], s[10:11], v[206:207]
	v_mul_f64_e32 v[32:33], 0.5, v[155:156]
	v_add_f64_e32 v[58:59], v[58:59], v[42:43]
	v_add_f64_e32 v[42:43], v[50:51], v[96:97]
	v_fma_f64 v[190:191], v[192:193], 0.5, v[190:191]
	v_mul_f64_e32 v[24:25], 0.5, v[175:176]
	v_add_f64_e32 v[90:91], v[22:23], v[204:205]
	v_add_f64_e64 v[22:23], v[22:23], -v[204:205]
	v_fma_f64 v[70:71], v[88:89], s[10:11], v[114:115]
	v_add_f64_e64 v[88:89], v[26:27], -v[20:21]
	v_fma_f64 v[200:201], v[163:164], 0.5, v[200:201]
	v_fma_f64 v[32:33], v[159:160], s[4:5], v[32:33]
	v_add_f64_e32 v[165:166], v[58:59], v[8:9]
	v_add_f64_e64 v[8:9], v[58:59], -v[8:9]
	v_mul_f64_e32 v[58:59], s[10:11], v[80:81]
	v_add_f64_e32 v[204:205], v[196:197], v[190:191]
	ds_store_2addr_b64 v211, v[90:91], v[46:47] offset0:20 offset1:30
	v_add_f64_e32 v[46:47], v[56:57], v[54:55]
	v_mul_f64_e32 v[90:91], s[10:11], v[175:176]
	v_add_f64_e64 v[54:55], v[56:57], -v[54:55]
	v_mul_f64_e32 v[56:57], s[10:11], v[177:178]
	v_add_f64_e64 v[190:191], v[196:197], -v[190:191]
	v_fma_f64 v[24:25], v[194:195], s[4:5], v[24:25]
	v_add_f64_e32 v[161:162], v[116:117], v[200:201]
	v_add_f64_e64 v[116:117], v[116:117], -v[200:201]
	v_add_f64_e32 v[200:201], v[38:39], v[30:31]
	v_add_f64_e32 v[38:39], v[98:99], v[38:39]
	v_fma_f64 v[58:59], v[68:69], -0.5, v[58:59]
	v_fma_f64 v[90:91], v[194:195], 0.5, v[90:91]
	v_fma_f64 v[56:57], v[92:93], -0.5, v[56:57]
	ds_store_2addr_b64 v211, v[157:158], v[161:162] offset1:10
	v_mul_f64_e32 v[157:158], s[10:11], v[155:156]
	v_mul_f64_e32 v[161:162], s[10:11], v[173:174]
	v_add_f64_e32 v[30:31], v[38:39], v[30:31]
	v_add_f64_e32 v[196:197], v[52:53], v[58:59]
	v_add_f64_e64 v[52:53], v[52:53], -v[58:59]
	ds_store_2addr_b64 v211, v[116:117], v[22:23] offset0:40 offset1:50
	ds_store_2addr_b64 v212, v[169:170], v[204:205] offset1:10
	ds_store_2addr_b64 v212, v[196:197], v[10:11] offset0:20 offset1:30
	ds_store_2addr_b64 v212, v[190:191], v[52:53] offset0:40 offset1:50
	v_fma_f64 v[157:158], v[159:160], 0.5, v[157:158]
	v_fma_f64 v[161:162], v[84:85], -0.5, v[161:162]
	v_mul_f64_e32 v[10:11], -0.5, v[80:81]
	v_fma_f64 v[22:23], v[200:201], -0.5, v[98:99]
	v_mul_f64_e32 v[52:53], -0.5, v[173:174]
	v_add3_u32 v169, 0, v118, v111
	v_add_f64_e64 v[115:116], v[30:31], -v[6:7]
	v_lshl_add_u32 v191, v142, 3, 0
	v_add_f64_e32 v[58:59], v[86:87], v[157:158]
	v_add_f64_e64 v[86:87], v[86:87], -v[157:158]
	v_add_f64_e32 v[157:158], v[112:113], v[161:162]
	v_add_f64_e64 v[112:113], v[112:113], -v[161:162]
	;; [unrolled: 2-line block ×4, first 2 shown]
	v_add_f64_e32 v[171:172], v[96:97], v[4:5]
	v_fma_f64 v[68:69], v[68:69], s[4:5], v[10:11]
	v_fma_f64 v[38:39], v[34:35], s[4:5], v[22:23]
	v_fma_f64 v[22:23], v[34:35], s[10:11], v[22:23]
	v_fma_f64 v[34:35], v[84:85], s[4:5], v[52:53]
	v_add_f64_e32 v[4:5], v[42:43], v[4:5]
	ds_store_2addr_b64 v140, v[165:166], v[58:59] offset1:10
	v_mul_f64_e32 v[58:59], -0.5, v[177:178]
	ds_store_2addr_b64 v140, v[157:158], v[8:9] offset0:20 offset1:30
	ds_store_2addr_b64 v140, v[86:87], v[112:113] offset0:40 offset1:50
	ds_store_2addr_b64 v169, v[46:47], v[161:162] offset1:10
	ds_store_2addr_b64 v169, v[153:154], v[54:55] offset0:20 offset1:30
	ds_store_2addr_b64 v169, v[90:91], v[56:57] offset0:40 offset1:50
	v_add_f64_e32 v[46:47], v[167:168], v[60:61]
	v_fma_f64 v[54:55], v[66:67], s[10:11], v[151:152]
	v_fma_f64 v[56:57], v[202:203], s[4:5], v[198:199]
	v_fma_f64 v[60:61], v[94:95], s[10:11], v[74:75]
	v_fma_f64 v[50:51], v[171:172], -0.5, v[50:51]
	v_fma_f64 v[66:67], v[192:193], s[4:5], v[82:83]
	v_add_f64_e32 v[86:87], v[44:45], v[40:41]
	v_add_f64_e64 v[44:45], v[44:45], -v[40:41]
	v_add_f64_e32 v[94:95], v[28:29], v[36:37]
	v_add_f64_e64 v[28:29], v[28:29], -v[36:37]
	v_add_f64_e32 v[98:99], v[70:71], v[68:69]
	v_add_f64_e32 v[117:118], v[22:23], v[34:35]
	v_add_f64_e64 v[109:110], v[70:71], -v[68:69]
	v_add_f64_e32 v[113:114], v[38:39], v[32:33]
	v_add_f64_e64 v[38:39], v[38:39], -v[32:33]
	v_add_f64_e64 v[34:35], v[22:23], -v[34:35]
	v_add_f64_e32 v[111:112], v[30:31], v[6:7]
	v_add_f64_e32 v[151:152], v[4:5], v[12:13]
	v_add_f64_e64 v[155:156], v[4:5], -v[12:13]
	global_wb scope:SCOPE_SE
	s_wait_dscnt 0x0
	s_barrier_signal -1
	s_barrier_wait -1
	global_inv scope:SCOPE_SE
	ds_load_b64 v[78:79], v127
	ds_load_b64 v[76:77], v129
	;; [unrolled: 1-line block ×6, first 2 shown]
	ds_load_2addr_stride64_b64 v[0:3], v179 offset1:9
	ds_load_2addr_b64 v[8:11], v119 offset0:64 offset1:160
	v_add_f64_e32 v[52:53], v[46:47], v[18:19]
	v_add_f64_e64 v[46:47], v[46:47], -v[18:19]
	v_add_f64_e32 v[84:85], v[54:55], v[56:57]
	v_add_f64_e64 v[54:55], v[54:55], -v[56:57]
	v_fma_f64 v[42:43], v[16:17], s[4:5], v[50:51]
	v_fma_f64 v[16:17], v[16:17], s[10:11], v[50:51]
	;; [unrolled: 1-line block ×3, first 2 shown]
	v_add_f64_e32 v[58:59], v[48:49], v[14:15]
	v_add_f64_e32 v[56:57], v[26:27], v[20:21]
	;; [unrolled: 1-line block ×3, first 2 shown]
	v_add_f64_e64 v[48:49], v[48:49], -v[14:15]
	v_add_f64_e64 v[92:93], v[60:61], -v[62:63]
	v_add_f64_e32 v[96:97], v[64:65], v[66:67]
	v_add_f64_e64 v[36:37], v[64:65], -v[66:67]
	v_add_f64_e32 v[153:154], v[42:43], v[24:25]
	;; [unrolled: 2-line block ×3, first 2 shown]
	v_add_f64_e64 v[50:51], v[16:17], -v[50:51]
	ds_load_2addr_b64 v[30:33], v189 offset0:128 offset1:224
	ds_load_2addr_b64 v[12:15], v187 offset1:96
	ds_load_2addr_stride64_b64 v[60:63], v101 offset0:13 offset1:16
	ds_load_2addr_b64 v[24:27], v186 offset1:96
	ds_load_2addr_b64 v[20:23], v104 offset0:64 offset1:160
	ds_load_2addr_b64 v[40:43], v103 offset0:32 offset1:128
	;; [unrolled: 1-line block ×6, first 2 shown]
	global_wb scope:SCOPE_SE
	s_wait_dscnt 0x0
	s_barrier_signal -1
	s_barrier_wait -1
	global_inv scope:SCOPE_SE
	ds_store_2addr_b64 v210, v[52:53], v[58:59] offset1:10
	ds_store_2addr_b64 v210, v[84:85], v[46:47] offset0:20 offset1:30
	ds_store_2addr_b64 v210, v[48:49], v[54:55] offset0:40 offset1:50
	ds_store_2addr_b64 v211, v[56:57], v[86:87] offset1:10
	ds_store_2addr_b64 v211, v[90:91], v[88:89] offset0:20 offset1:30
	ds_store_2addr_b64 v211, v[44:45], v[92:93] offset0:40 offset1:50
	ds_store_2addr_b64 v212, v[94:95], v[96:97] offset1:10
	v_mul_lo_u16 v44, 0x89, v105
	v_subrev_nc_u32_e32 v46, 60, v120
	ds_store_2addr_b64 v212, v[98:99], v[28:29] offset0:20 offset1:30
	ds_store_2addr_b64 v212, v[36:37], v[109:110] offset0:40 offset1:50
	ds_store_2addr_b64 v140, v[111:112], v[113:114] offset1:10
	ds_store_2addr_b64 v140, v[117:118], v[115:116] offset0:20 offset1:30
	ds_store_2addr_b64 v140, v[38:39], v[34:35] offset0:40 offset1:50
	ds_store_2addr_b64 v169, v[151:152], v[153:154] offset1:10
	v_lshrrev_b16 v190, 13, v44
	s_wait_alu 0xf1ff
	v_cndmask_b32_e64 v136, v46, v120, s0
	v_mov_b32_e32 v88, 0
	ds_store_2addr_b64 v169, v[159:160], v[155:156] offset0:20 offset1:30
	ds_store_2addr_b64 v169, v[157:158], v[50:51] offset0:40 offset1:50
	global_wb scope:SCOPE_SE
	s_wait_dscnt 0x0
	v_mul_lo_u16 v34, v190, 60
	v_mul_i32_i24_e32 v87, 5, v136
	s_barrier_signal -1
	s_barrier_wait -1
	global_inv scope:SCOPE_SE
	v_sub_nc_u16 v34, v130, v34
	v_lshlrev_b64_e32 v[28:29], 4, v[87:88]
	s_delay_alu instid0(VALU_DEP_2) | instskip(NEXT) | instid1(VALU_DEP_2)
	v_and_b32_e32 v140, 0xff, v34
	v_add_co_u32 v117, s0, s8, v28
	s_wait_alu 0xf1ff
	s_delay_alu instid0(VALU_DEP_3) | instskip(NEXT) | instid1(VALU_DEP_3)
	v_add_co_ci_u32_e64 v118, s0, s9, v29, s0
	v_mul_u32_u24_e32 v29, 5, v140
	v_mul_u32_u24_e32 v28, 0x8889, v108
	v_cmp_lt_u32_e64 s0, 59, v120
	global_load_b128 v[34:37], v[117:118], off offset:848
	v_lshlrev_b32_e32 v99, 4, v29
	v_lshrrev_b32_e32 v192, 21, v28
	v_mul_u32_u24_e32 v29, 0x8889, v107
	s_clause 0x1
	global_load_b128 v[44:47], v99, s[8:9] offset:848
	global_load_b128 v[48:51], v99, s[8:9] offset:832
	v_mul_lo_u16 v28, v192, 60
	v_lshrrev_b32_e32 v195, 21, v29
	s_delay_alu instid0(VALU_DEP_2) | instskip(NEXT) | instid1(VALU_DEP_2)
	v_sub_nc_u16 v28, v137, v28
	v_mul_lo_u16 v29, v195, 60
	s_delay_alu instid0(VALU_DEP_2) | instskip(NEXT) | instid1(VALU_DEP_2)
	v_and_b32_e32 v193, 0xffff, v28
	v_sub_nc_u16 v29, v145, v29
	s_delay_alu instid0(VALU_DEP_2) | instskip(NEXT) | instid1(VALU_DEP_2)
	v_mul_u32_u24_e32 v28, 5, v193
	v_and_b32_e32 v194, 0xffff, v29
	s_delay_alu instid0(VALU_DEP_2)
	v_lshlrev_b32_e32 v28, 4, v28
	s_clause 0x2
	global_load_b128 v[52:55], v28, s[8:9] offset:832
	global_load_b128 v[56:59], v99, s[8:9] offset:864
	;; [unrolled: 1-line block ×3, first 2 shown]
	v_mul_u32_u24_e32 v29, 5, v194
	global_load_b128 v[107:110], v28, s[8:9] offset:800
	v_lshlrev_b32_e32 v153, 4, v29
	s_clause 0x4
	global_load_b128 v[113:116], v153, s[8:9] offset:800
	global_load_b128 v[165:168], v28, s[8:9] offset:816
	;; [unrolled: 1-line block ×5, first 2 shown]
	v_mul_u32_u24_e32 v28, 0x8889, v106
	ds_load_2addr_b64 v[84:87], v189 offset0:128 offset1:224
	global_load_b128 v[202:205], v99, s[8:9] offset:816
	ds_load_2addr_b64 v[91:94], v186 offset1:96
	global_load_b128 v[206:209], v[117:118], off offset:832
	v_lshrrev_b32_e32 v197, 21, v28
	ds_load_2addr_b64 v[214:217], v104 offset0:64 offset1:160
	ds_load_2addr_b64 v[218:221], v103 offset0:32 offset1:128
	v_mul_lo_u16 v28, v197, 60
	s_delay_alu instid0(VALU_DEP_1) | instskip(NEXT) | instid1(VALU_DEP_1)
	v_sub_nc_u16 v28, v147, v28
	v_and_b32_e32 v196, 0xffff, v28
	s_delay_alu instid0(VALU_DEP_1) | instskip(NEXT) | instid1(VALU_DEP_1)
	v_mul_u32_u24_e32 v28, 5, v196
	v_lshlrev_b32_e32 v154, 4, v28
	global_load_b128 v[210:213], v154, s[8:9] offset:800
	s_wait_loadcnt_dscnt 0xe03
	v_mul_f64_e32 v[28:29], v[84:85], v[36:37]
	v_mul_f64_e32 v[36:37], v[30:31], v[36:37]
	s_wait_loadcnt 0xd
	v_mul_f64_e32 v[38:39], v[86:87], v[46:47]
	v_mul_f64_e32 v[46:47], v[32:33], v[46:47]
	s_wait_loadcnt_dscnt 0xc02
	v_mul_f64_e32 v[89:90], v[91:92], v[50:51]
	v_mul_f64_e32 v[50:51], v[24:25], v[50:51]
	s_wait_loadcnt 0xb
	v_mul_f64_e32 v[105:106], v[93:94], v[54:55]
	v_mul_f64_e32 v[54:55], v[26:27], v[54:55]
	s_wait_loadcnt_dscnt 0x800
	v_mul_f64_e32 v[103:104], v[218:219], v[109:110]
	v_fma_f64 v[111:112], v[30:31], v[34:35], v[28:29]
	global_load_b128 v[28:31], v154, s[8:9] offset:816
	v_fma_f64 v[84:85], v[84:85], v[34:35], -v[36:37]
	v_fma_f64 v[151:152], v[32:33], v[44:45], v[38:39]
	global_load_b128 v[36:39], v154, s[8:9] offset:832
	v_fma_f64 v[86:87], v[86:87], v[44:45], -v[46:47]
	v_mul_f64_e32 v[44:45], v[214:215], v[58:59]
	v_mul_f64_e32 v[46:47], v[20:21], v[58:59]
	;; [unrolled: 1-line block ×3, first 2 shown]
	global_load_b128 v[32:35], v153, s[8:9] offset:832
	v_fma_f64 v[155:156], v[24:25], v[48:49], v[89:90]
	v_fma_f64 v[91:92], v[91:92], v[48:49], -v[50:51]
	global_load_b128 v[48:51], v[117:118], off offset:816
	v_mul_f64_e32 v[97:98], v[22:23], v[97:98]
	v_fma_f64 v[157:158], v[26:27], v[52:53], v[105:106]
	global_load_b128 v[24:27], v[117:118], off offset:800
	v_mul_f64_e32 v[105:106], v[40:41], v[109:110]
	s_wait_loadcnt 0xc
	v_mul_f64_e32 v[109:110], v[220:221], v[115:116]
	v_fma_f64 v[89:90], v[93:94], v[52:53], -v[54:55]
	v_fma_f64 v[163:164], v[40:41], v[107:108], v[103:104]
	v_fma_f64 v[161:162], v[20:21], v[56:57], v[44:45]
	v_fma_f64 v[93:94], v[214:215], v[56:57], -v[46:47]
	v_fma_f64 v[159:160], v[22:23], v[95:96], v[58:59]
	s_clause 0x3
	global_load_b128 v[56:59], v[117:118], off offset:864
	global_load_b128 v[20:23], v99, s[8:9] offset:800
	global_load_b128 v[52:55], v154, s[8:9] offset:848
	;; [unrolled: 1-line block ×3, first 2 shown]
	v_fma_f64 v[95:96], v[216:217], v[95:96], -v[97:98]
	v_mul_f64_e32 v[97:98], v[42:43], v[115:116]
	v_fma_f64 v[105:106], v[218:219], v[107:108], -v[105:106]
	v_fma_f64 v[109:110], v[42:43], v[113:114], v[109:110]
	global_load_b128 v[40:43], v154, s[8:9] offset:864
	v_fma_f64 v[107:108], v[220:221], v[113:114], -v[97:98]
	ds_load_2addr_b64 v[113:116], v100 offset0:128 offset1:224
	s_wait_loadcnt 0x10
	v_mul_f64_e32 v[99:100], v[68:69], v[167:168]
	s_wait_dscnt 0x0
	v_mul_f64_e32 v[97:98], v[113:114], v[167:168]
	s_wait_loadcnt 0xf
	v_mul_f64_e32 v[103:104], v[115:116], v[171:172]
	s_delay_alu instid0(VALU_DEP_3) | instskip(NEXT) | instid1(VALU_DEP_3)
	v_fma_f64 v[99:100], v[113:114], v[165:166], -v[99:100]
	v_fma_f64 v[117:118], v[68:69], v[165:166], v[97:98]
	v_mul_f64_e32 v[97:98], v[70:71], v[171:172]
	s_delay_alu instid0(VALU_DEP_4)
	v_fma_f64 v[113:114], v[70:71], v[169:170], v[103:104]
	ds_load_2addr_b64 v[68:71], v102 offset0:64 offset1:160
	s_wait_loadcnt 0xd
	v_mul_f64_e32 v[165:166], v[66:67], v[200:201]
	s_wait_dscnt 0x0
	v_mul_f64_e32 v[153:154], v[68:69], v[175:176]
	v_fma_f64 v[103:104], v[115:116], v[169:170], -v[97:98]
	v_mul_f64_e32 v[97:98], v[64:65], v[175:176]
	ds_load_2addr_stride64_b64 v[167:170], v101 offset0:13 offset1:16
	v_mul_f64_e32 v[115:116], v[70:71], v[200:201]
	v_fma_f64 v[101:102], v[70:71], v[198:199], -v[165:166]
	v_fma_f64 v[153:154], v[64:65], v[173:174], v[153:154]
	s_wait_loadcnt_dscnt 0xc00
	v_mul_f64_e32 v[171:172], v[169:170], v[204:205]
	s_wait_loadcnt 0xa
	v_mul_f64_e32 v[177:178], v[167:168], v[212:213]
	v_fma_f64 v[97:98], v[68:69], v[173:174], -v[97:98]
	v_mul_f64_e32 v[173:174], v[62:63], v[204:205]
	ds_load_2addr_b64 v[68:71], v119 offset0:64 offset1:160
	v_fma_f64 v[115:116], v[66:67], v[198:199], v[115:116]
	v_mul_f64_e32 v[198:199], v[60:61], v[212:213]
	ds_load_2addr_b64 v[64:67], v134 offset0:64 offset1:160
	v_mul_u32_u24_e32 v119, 0xb40, v197
	s_wait_dscnt 0x1
	v_mul_f64_e32 v[200:201], v[70:71], v[208:209]
	v_fma_f64 v[165:166], v[62:63], v[202:203], v[171:172]
	v_fma_f64 v[60:61], v[60:61], v[210:211], v[177:178]
	v_fma_f64 v[62:63], v[169:170], v[202:203], -v[173:174]
	v_mul_f64_e32 v[202:203], v[10:11], v[208:209]
	s_wait_loadcnt 0x9
	v_mul_f64_e32 v[175:176], v[68:69], v[30:31]
	v_mul_f64_e32 v[177:178], v[8:9], v[30:31]
	v_fma_f64 v[30:31], v[167:168], v[210:211], -v[198:199]
	ds_load_b64 v[167:168], v181
	s_wait_loadcnt_dscnt 0x801
	v_mul_f64_e32 v[171:172], v[66:67], v[38:39]
	v_mul_f64_e32 v[38:39], v[18:19], v[38:39]
	s_wait_loadcnt 0x7
	v_mul_f64_e32 v[169:170], v[64:65], v[34:35]
	v_mul_f64_e32 v[173:174], v[16:17], v[34:35]
	v_fma_f64 v[34:35], v[10:11], v[206:207], v[200:201]
	v_fma_f64 v[10:11], v[70:71], v[206:207], -v[202:203]
	ds_load_b64 v[202:203], v184
	ds_load_b64 v[204:205], v185
	ds_load_2addr_stride64_b64 v[198:201], v179 offset1:9
	ds_load_b64 v[206:207], v180
	v_fma_f64 v[8:9], v[8:9], v[28:29], v[175:176]
	s_wait_loadcnt_dscnt 0x604
	v_mul_f64_e32 v[175:176], v[167:168], v[50:51]
	v_mul_f64_e32 v[50:51], v[82:83], v[50:51]
	v_fma_f64 v[28:29], v[68:69], v[28:29], -v[177:178]
	ds_load_2addr_b64 v[68:71], v187 offset1:96
	v_lshl_add_u32 v177, v128, 3, 0
	v_lshl_add_u32 v178, v135, 3, 0
	v_fma_f64 v[208:209], v[18:19], v[36:37], v[171:172]
	v_fma_f64 v[36:37], v[66:67], v[36:37], -v[38:39]
	s_wait_loadcnt_dscnt 0x302
	v_mul_f64_e32 v[38:39], v[200:201], v[22:23]
	v_fma_f64 v[169:170], v[16:17], v[32:33], v[169:170]
	ds_load_2addr_b64 v[16:19], v188 offset0:128 offset1:224
	v_fma_f64 v[32:33], v[64:65], v[32:33], -v[173:174]
	s_wait_dscnt 0x2
	v_mul_f64_e32 v[64:65], v[206:207], v[26:27]
	v_mul_f64_e32 v[26:27], v[80:81], v[26:27]
	v_lshl_add_u32 v173, v133, 3, 0
	v_lshl_add_u32 v174, v139, 3, 0
	s_wait_dscnt 0x1
	v_mul_f64_e32 v[171:172], v[70:71], v[58:59]
	v_mul_f64_e32 v[58:59], v[14:15], v[58:59]
	s_wait_loadcnt 0x2
	v_mul_f64_e32 v[66:67], v[68:69], v[54:55]
	v_mul_f64_e32 v[54:55], v[12:13], v[54:55]
	v_fma_f64 v[82:83], v[82:83], v[48:49], v[175:176]
	v_fma_f64 v[48:49], v[167:168], v[48:49], -v[50:51]
	s_wait_loadcnt_dscnt 0x100
	v_mul_f64_e32 v[50:51], v[16:17], v[46:47]
	v_mul_f64_e32 v[46:47], v[4:5], v[46:47]
	s_wait_loadcnt 0x0
	v_mul_f64_e32 v[167:168], v[18:19], v[42:43]
	v_mul_f64_e32 v[42:43], v[6:7], v[42:43]
	v_lshl_add_u32 v175, v126, 3, 0
	v_lshl_add_u32 v176, v141, 3, 0
	v_fma_f64 v[38:39], v[2:3], v[20:21], v[38:39]
	v_mul_f64_e32 v[2:3], v[2:3], v[22:23]
	v_fma_f64 v[64:65], v[80:81], v[24:25], v[64:65]
	v_lshlrev_b32_e32 v81, 3, v140
	v_fma_f64 v[24:25], v[206:207], v[24:25], -v[26:27]
	v_add_f64_e32 v[26:27], v[163:164], v[157:158]
	v_mul_u32_u24_e32 v80, 0xb40, v195
	v_lshlrev_b32_e32 v140, 3, v194
	v_fma_f64 v[14:15], v[14:15], v[56:57], v[171:172]
	v_fma_f64 v[56:57], v[70:71], v[56:57], -v[58:59]
	v_fma_f64 v[12:13], v[12:13], v[52:53], v[66:67]
	s_wait_alu 0xf1ff
	v_cndmask_b32_e64 v58, 0, 0xb40, s0
	v_fma_f64 v[52:53], v[68:69], v[52:53], -v[54:55]
	v_lshlrev_b32_e32 v54, 3, v136
	v_and_b32_e32 v66, 0xffff, v190
	v_mul_u32_u24_e32 v70, 0xb40, v192
	v_lshlrev_b32_e32 v136, 3, v193
	v_add_f64_e32 v[68:69], v[157:158], v[159:160]
	v_add3_u32 v134, 0, v58, v54
	v_add_f64_e32 v[58:59], v[165:166], v[151:152]
	v_mul_u32_u24_e32 v71, 0xb40, v66
	v_add_f64_e32 v[66:67], v[78:79], v[165:166]
	v_add3_u32 v136, 0, v70, v136
	v_add_f64_e32 v[22:23], v[82:83], v[111:112]
	v_add_f64_e32 v[54:55], v[48:49], v[84:85]
	v_fma_f64 v[4:5], v[4:5], v[44:45], v[50:51]
	v_fma_f64 v[16:17], v[16:17], v[44:45], -v[46:47]
	v_fma_f64 v[6:7], v[6:7], v[40:41], v[167:168]
	v_fma_f64 v[18:19], v[18:19], v[40:41], -v[42:43]
	v_add_f64_e32 v[42:43], v[155:156], v[161:162]
	v_add3_u32 v211, 0, v71, v81
	v_add_f64_e32 v[70:71], v[117:118], v[153:154]
	v_add_f64_e32 v[167:168], v[91:92], v[93:94]
	;; [unrolled: 1-line block ×4, first 2 shown]
	v_fma_f64 v[2:3], v[200:201], v[20:21], -v[2:3]
	v_add_f64_e64 v[155:156], v[155:156], -v[161:162]
	v_add_f64_e32 v[193:194], v[109:110], v[169:170]
	v_add_f64_e32 v[44:45], v[64:65], v[34:35]
	v_add3_u32 v140, 0, v80, v140
	v_add_f64_e32 v[80:81], v[76:77], v[117:118]
	v_add_f64_e64 v[165:166], v[165:166], -v[151:152]
	v_lshlrev_b32_e32 v171, 3, v196
	v_add_f64_e32 v[195:196], v[198:199], v[48:49]
	v_add_f64_e64 v[157:158], v[157:158], -v[159:160]
	v_add_f64_e32 v[26:27], v[26:27], v[159:160]
	v_add_f64_e32 v[46:47], v[34:35], v[14:15]
	;; [unrolled: 1-line block ×3, first 2 shown]
	v_add_f64_e64 v[34:35], v[34:35], -v[14:15]
	v_add_f64_e32 v[159:160], v[8:9], v[12:13]
	v_add_f64_e64 v[48:49], v[48:49], -v[84:85]
	v_add_f64_e64 v[82:83], v[82:83], -v[111:112]
	v_add3_u32 v171, 0, v119, v171
	v_add_nc_u32_e32 v212, 0x400, v134
	v_lshl_add_u32 v172, v143, 3, 0
	v_fma_f64 v[68:69], v[68:69], -0.5, v[163:164]
	v_add_f64_e32 v[163:164], v[72:73], v[8:9]
	v_fma_f64 v[58:59], v[58:59], -0.5, v[78:79]
	v_add_f64_e64 v[8:9], v[8:9], -v[12:13]
	v_add_f64_e32 v[66:67], v[66:67], v[151:152]
	ds_load_b64 v[151:152], v127
	v_fma_f64 v[0:1], v[22:23], -0.5, v[0:1]
	v_add_f64_e32 v[22:23], v[89:90], v[95:96]
	v_fma_f64 v[54:55], v[54:55], -0.5, v[198:199]
	v_add_f64_e32 v[197:198], v[169:170], v[4:5]
	v_add_f64_e32 v[199:200], v[60:61], v[208:209]
	;; [unrolled: 1-line block ×3, first 2 shown]
	v_fma_f64 v[38:39], v[42:43], -0.5, v[38:39]
	v_add_f64_e32 v[42:43], v[208:209], v[6:7]
	v_fma_f64 v[70:71], v[70:71], -0.5, v[76:77]
	v_add_f64_e64 v[76:77], v[117:118], -v[153:154]
	v_add_f64_e32 v[50:51], v[50:51], v[111:112]
	v_add_f64_e32 v[40:41], v[40:41], v[161:162]
	v_add_f64_e32 v[161:162], v[32:33], v[16:17]
	v_fma_f64 v[117:118], v[167:168], -0.5, v[2:3]
	v_add_f64_e64 v[167:168], v[169:170], -v[4:5]
	v_add_f64_e32 v[14:15], v[44:45], v[14:15]
	v_add_f64_e32 v[44:45], v[113:114], v[115:116]
	;; [unrolled: 1-line block ×3, first 2 shown]
	v_add_f64_e64 v[193:194], v[208:209], -v[6:7]
	v_add_f64_e32 v[2:3], v[2:3], v[91:92]
	v_add_f64_e32 v[80:81], v[80:81], v[153:154]
	ds_load_b64 v[153:154], v129
	s_wait_dscnt 0x1
	v_add_f64_e32 v[169:170], v[151:152], v[62:63]
	v_fma_f64 v[46:47], v[46:47], -0.5, v[64:65]
	v_fma_f64 v[20:21], v[20:21], -0.5, v[24:25]
	v_add_f64_e32 v[64:65], v[74:75], v[113:114]
	v_add_f64_e32 v[24:25], v[24:25], v[10:11]
	v_add_f64_e64 v[10:11], v[10:11], -v[56:57]
	v_fma_f64 v[72:73], v[159:160], -0.5, v[72:73]
	v_add_f64_e32 v[159:160], v[202:203], v[103:104]
	v_add_f64_e32 v[84:85], v[195:196], v[84:85]
	v_add_f64_e64 v[112:113], v[113:114], -v[115:116]
	v_add_f64_e64 v[91:92], v[91:92], -v[93:94]
	v_add_f64_e32 v[12:13], v[163:164], v[12:13]
	v_add_f64_e32 v[163:164], v[204:205], v[28:29]
	v_add_nc_u32_e32 v190, 0x2c00, v179
	v_add_nc_u32_e32 v192, 0x3c00, v179
	;; [unrolled: 1-line block ×4, first 2 shown]
	v_fma_f64 v[22:23], v[22:23], -0.5, v[105:106]
	v_add_f64_e32 v[105:106], v[105:106], v[89:90]
	v_fma_f64 v[109:110], v[197:198], -0.5, v[109:110]
	v_add_f64_e32 v[197:198], v[62:63], v[86:87]
	;; [unrolled: 2-line block ×3, first 2 shown]
	v_fma_f64 v[42:43], v[42:43], -0.5, v[60:61]
	s_wait_dscnt 0x0
	v_add_f64_e32 v[60:61], v[153:154], v[99:100]
	v_add_f64_e64 v[62:63], v[62:63], -v[86:87]
	v_add_f64_e64 v[89:90], v[89:90], -v[95:96]
	v_add_f64_e64 v[36:37], v[36:37], -v[18:19]
	v_fma_f64 v[161:162], v[161:162], -0.5, v[107:108]
	v_add_f64_e32 v[107:108], v[107:108], v[32:33]
	v_add_f64_e64 v[32:33], v[32:33], -v[16:17]
	v_add_f64_e32 v[6:7], v[199:200], v[6:7]
	v_fma_f64 v[44:45], v[44:45], -0.5, v[74:75]
	v_add_f64_e32 v[74:75], v[99:100], v[97:98]
	v_add_f64_e64 v[99:100], v[99:100], -v[97:98]
	v_add_f64_e32 v[2:3], v[2:3], v[93:94]
	v_add_f64_e32 v[199:200], v[28:29], v[52:53]
	v_add_f64_e64 v[28:29], v[28:29], -v[52:53]
	v_add_nc_u32_e32 v214, 0x400, v136
	v_add_nc_u32_e32 v215, 0x400, v140
	v_fma_f64 v[195:196], v[34:35], s[4:5], v[20:21]
	v_add_f64_e32 v[64:65], v[64:65], v[115:116]
	v_fma_f64 v[20:21], v[34:35], s[10:11], v[20:21]
	v_fma_f64 v[34:35], v[155:156], s[4:5], v[117:118]
	v_fma_f64 v[116:117], v[155:156], s[10:11], v[117:118]
	v_add_f64_e32 v[114:115], v[103:104], v[101:102]
	v_add_f64_e64 v[103:104], v[103:104], -v[101:102]
	v_add_f64_e32 v[24:25], v[24:25], v[56:57]
	v_add_f64_e32 v[56:57], v[169:170], v[86:87]
	v_add_nc_u32_e32 v216, 0x400, v171
	v_add_f64_e32 v[52:53], v[163:164], v[52:53]
	global_wb scope:SCOPE_SE
	s_barrier_signal -1
	s_barrier_wait -1
	global_inv scope:SCOPE_SE
	v_fma_f64 v[118:119], v[157:158], s[4:5], v[22:23]
	v_fma_f64 v[22:23], v[157:158], s[10:11], v[22:23]
	v_add_f64_e32 v[95:96], v[105:106], v[95:96]
	v_add_f64_e32 v[105:106], v[50:51], v[14:15]
	v_fma_f64 v[93:94], v[193:194], s[4:5], v[78:79]
	v_fma_f64 v[78:79], v[193:194], s[10:11], v[78:79]
	v_add_f64_e32 v[18:19], v[30:31], v[18:19]
	v_add_f64_e32 v[60:61], v[60:61], v[97:98]
	;; [unrolled: 1-line block ×3, first 2 shown]
	v_fma_f64 v[30:31], v[10:11], s[10:11], v[46:47]
	v_fma_f64 v[101:102], v[48:49], s[10:11], v[0:1]
	;; [unrolled: 1-line block ×10, first 2 shown]
	v_add_f64_e64 v[14:15], v[50:51], -v[14:15]
	v_add_f64_e32 v[50:51], v[66:67], v[40:41]
	v_add_f64_e64 v[40:41], v[66:67], -v[40:41]
	v_fma_f64 v[66:67], v[89:90], s[10:11], v[68:69]
	v_mul_f64_e32 v[62:63], s[10:11], v[195:196]
	v_mul_f64_e32 v[195:196], 0.5, v[195:196]
	v_mul_f64_e32 v[91:92], s[10:11], v[20:21]
	v_mul_f64_e32 v[20:21], -0.5, v[20:21]
	v_mul_f64_e32 v[157:158], s[10:11], v[116:117]
	v_fma_f64 v[68:69], v[89:90], s[4:5], v[68:69]
	v_fma_f64 v[151:152], v[197:198], -0.5, v[151:152]
	v_add_f64_e32 v[16:17], v[107:108], v[16:17]
	v_mul_f64_e32 v[107:108], s[10:11], v[34:35]
	v_fma_f64 v[163:164], v[32:33], s[10:11], v[109:110]
	v_fma_f64 v[32:33], v[32:33], s[4:5], v[109:110]
	v_mul_f64_e32 v[34:35], 0.5, v[34:35]
	v_fma_f64 v[159:160], v[99:100], s[10:11], v[70:71]
	v_fma_f64 v[70:71], v[99:100], s[4:5], v[70:71]
	v_add_f64_e32 v[99:100], v[64:65], v[4:5]
	v_mul_f64_e32 v[89:90], s[10:11], v[118:119]
	v_mul_f64_e32 v[161:162], s[10:11], v[22:23]
	v_add_f64_e64 v[4:5], v[64:65], -v[4:5]
	v_mul_f64_e32 v[64:65], -0.5, v[116:117]
	v_fma_f64 v[169:170], v[36:37], s[10:11], v[42:43]
	v_fma_f64 v[36:37], v[36:37], s[4:5], v[42:43]
	v_mul_f64_e32 v[193:194], s[10:11], v[78:79]
	v_fma_f64 v[74:75], v[74:75], -0.5, v[153:154]
	v_fma_f64 v[114:115], v[114:115], -0.5, v[202:203]
	v_add_f64_e32 v[197:198], v[80:81], v[26:27]
	v_add_f64_e64 v[26:27], v[80:81], -v[26:27]
	v_mul_f64_e32 v[167:168], s[10:11], v[155:156]
	v_mul_f64_e32 v[109:110], s[10:11], v[86:87]
	v_fma_f64 v[80:81], v[103:104], s[10:11], v[44:45]
	v_fma_f64 v[44:45], v[103:104], s[4:5], v[44:45]
	v_fma_f64 v[103:104], v[28:29], s[10:11], v[72:73]
	v_fma_f64 v[28:29], v[28:29], s[4:5], v[72:73]
	v_mul_f64_e32 v[72:73], 0.5, v[118:119]
	v_mul_f64_e32 v[86:87], 0.5, v[86:87]
	v_mul_f64_e32 v[118:119], -0.5, v[155:156]
	v_fma_f64 v[153:154], v[199:200], -0.5, v[204:205]
	v_mul_f64_e32 v[42:43], s[10:11], v[93:94]
	v_mul_f64_e32 v[22:23], -0.5, v[22:23]
	v_mul_f64_e32 v[93:94], 0.5, v[93:94]
	v_mul_f64_e32 v[78:79], -0.5, v[78:79]
	v_add_f64_e32 v[116:117], v[12:13], v[6:7]
	v_fma_f64 v[62:63], v[30:31], 0.5, v[62:63]
	v_add_f64_e64 v[6:7], v[12:13], -v[6:7]
	v_fma_f64 v[12:13], v[82:83], s[4:5], v[54:55]
	v_fma_f64 v[30:31], v[30:31], s[4:5], v[195:196]
	v_fma_f64 v[91:92], v[10:11], -0.5, v[91:92]
	v_fma_f64 v[155:156], v[38:39], -0.5, v[157:158]
	v_fma_f64 v[54:55], v[82:83], s[10:11], v[54:55]
	v_fma_f64 v[10:11], v[10:11], s[4:5], v[20:21]
	v_fma_f64 v[107:108], v[46:47], 0.5, v[107:108]
	v_add_f64_e32 v[82:83], v[84:85], v[24:25]
	v_add_f64_e64 v[84:85], v[84:85], -v[24:25]
	v_fma_f64 v[24:25], v[165:166], s[4:5], v[151:152]
	v_fma_f64 v[89:90], v[66:67], 0.5, v[89:90]
	v_fma_f64 v[157:158], v[68:69], -0.5, v[161:162]
	v_fma_f64 v[34:35], v[46:47], s[4:5], v[34:35]
	v_fma_f64 v[151:152], v[165:166], s[10:11], v[151:152]
	;; [unrolled: 1-line block ×3, first 2 shown]
	v_add_f64_e32 v[165:166], v[56:57], v[2:3]
	v_fma_f64 v[161:162], v[32:33], -0.5, v[167:168]
	v_fma_f64 v[167:168], v[36:37], -0.5, v[193:194]
	v_add_f64_e64 v[193:194], v[56:57], -v[2:3]
	v_fma_f64 v[2:3], v[76:77], s[4:5], v[74:75]
	v_fma_f64 v[56:57], v[76:77], s[10:11], v[74:75]
	;; [unrolled: 1-line block ×4, first 2 shown]
	v_add_f64_e32 v[112:113], v[60:61], v[95:96]
	v_add_f64_e64 v[95:96], v[60:61], -v[95:96]
	v_fma_f64 v[46:47], v[66:67], s[4:5], v[72:73]
	v_fma_f64 v[60:61], v[163:164], s[4:5], v[86:87]
	;; [unrolled: 1-line block ×3, first 2 shown]
	v_fma_f64 v[109:110], v[163:164], 0.5, v[109:110]
	v_fma_f64 v[42:43], v[169:170], 0.5, v[42:43]
	v_fma_f64 v[20:21], v[8:9], s[4:5], v[153:154]
	v_fma_f64 v[22:23], v[68:69], s[4:5], v[22:23]
	;; [unrolled: 1-line block ×5, first 2 shown]
	v_add_f64_e32 v[66:67], v[101:102], v[62:63]
	v_add_f64_e32 v[153:154], v[12:13], v[30:31]
	;; [unrolled: 1-line block ×4, first 2 shown]
	v_add_f64_e64 v[58:59], v[58:59], -v[155:156]
	v_add_f64_e32 v[155:156], v[54:55], v[10:11]
	v_add_f64_e64 v[62:63], v[101:102], -v[62:63]
	v_add_f64_e64 v[0:1], v[0:1], -v[91:92]
	v_add_f64_e32 v[91:92], v[159:160], v[89:90]
	v_add_f64_e32 v[93:94], v[70:71], v[157:158]
	v_add_f64_e64 v[89:90], v[159:160], -v[89:90]
	v_add_f64_e64 v[70:71], v[70:71], -v[157:158]
	;; [unrolled: 1-line block ×4, first 2 shown]
	v_add_f64_e32 v[78:79], v[48:49], v[107:108]
	v_add_f64_e64 v[48:49], v[48:49], -v[107:108]
	v_add_f64_e32 v[163:164], v[151:152], v[38:39]
	v_add_f64_e64 v[38:39], v[151:152], -v[38:39]
	v_add_f64_e64 v[118:119], v[52:53], -v[18:19]
	v_add_f64_e32 v[107:108], v[44:45], v[161:162]
	v_add_f64_e64 v[44:45], v[44:45], -v[161:162]
	v_add_f64_e32 v[161:162], v[24:25], v[34:35]
	v_add_f64_e32 v[114:115], v[28:29], v[167:168]
	v_add_f64_e64 v[28:29], v[28:29], -v[167:168]
	v_add_f64_e64 v[167:168], v[24:25], -v[34:35]
	v_add_f64_e32 v[72:73], v[97:98], v[16:17]
	v_add_f64_e64 v[97:98], v[97:98], -v[16:17]
	v_add_f64_e32 v[151:152], v[2:3], v[46:47]
	v_add_f64_e32 v[201:202], v[74:75], v[60:61]
	v_add_f64_e64 v[74:75], v[74:75], -v[60:61]
	v_add_f64_e32 v[203:204], v[76:77], v[32:33]
	v_add_f64_e64 v[76:77], v[76:77], -v[32:33]
	;; [unrolled: 2-line block ×4, first 2 shown]
	v_add_f64_e32 v[103:104], v[52:53], v[18:19]
	v_add_f64_e32 v[195:196], v[56:57], v[22:23]
	;; [unrolled: 1-line block ×3, first 2 shown]
	v_add_f64_e64 v[169:170], v[2:3], -v[46:47]
	v_add_f64_e64 v[199:200], v[56:57], -v[22:23]
	v_add_f64_e32 v[209:210], v[8:9], v[36:37]
	v_add_f64_e64 v[207:208], v[20:21], -v[64:65]
	v_add_f64_e64 v[36:37], v[8:9], -v[36:37]
	ds_store_2addr_b64 v134, v[105:106], v[66:67] offset1:60
	ds_store_2addr_b64 v134, v[68:69], v[14:15] offset0:120 offset1:180
	ds_store_2addr_b64 v212, v[62:63], v[0:1] offset0:112 offset1:172
	ds_store_2addr_b64 v211, v[50:51], v[78:79] offset1:60
	ds_store_2addr_b64 v211, v[86:87], v[40:41] offset0:120 offset1:180
	ds_store_2addr_b64 v213, v[48:49], v[58:59] offset0:112 offset1:172
	;; [unrolled: 3-line block ×5, first 2 shown]
	global_wb scope:SCOPE_SE
	s_wait_dscnt 0x0
	s_barrier_signal -1
	s_barrier_wait -1
	global_inv scope:SCOPE_SE
	ds_load_b64 v[52:53], v179
	ds_load_b64 v[46:47], v184
	;; [unrolled: 1-line block ×15, first 2 shown]
	ds_load_b64 v[60:61], v179 offset:22272
	ds_load_2addr_b64 v[64:67], v190 offset0:32 offset1:128
	ds_load_2addr_b64 v[20:23], v186 offset0:96 offset1:192
	;; [unrolled: 1-line block ×7, first 2 shown]
	global_wb scope:SCOPE_SE
	s_wait_dscnt 0x0
	s_barrier_signal -1
	s_barrier_wait -1
	global_inv scope:SCOPE_SE
	ds_store_2addr_b64 v134, v[82:83], v[153:154] offset1:60
	ds_store_2addr_b64 v134, v[155:156], v[84:85] offset0:120 offset1:180
	ds_store_2addr_b64 v212, v[157:158], v[159:160] offset0:112 offset1:172
	ds_store_2addr_b64 v211, v[165:166], v[161:162] offset1:60
	ds_store_2addr_b64 v211, v[163:164], v[193:194] offset0:120 offset1:180
	ds_store_2addr_b64 v213, v[167:168], v[38:39] offset0:112 offset1:172
	;; [unrolled: 3-line block ×3, first 2 shown]
	ds_store_2addr_b64 v140, v[72:73], v[201:202] offset1:60
	ds_store_2addr_b64 v140, v[203:204], v[97:98] offset0:120 offset1:180
	v_lshlrev_b64_e32 v[38:39], 4, v[120:121]
	ds_store_2addr_b64 v215, v[74:75], v[76:77] offset0:112 offset1:172
	ds_store_2addr_b64 v171, v[103:104], v[205:206] offset1:60
	ds_store_2addr_b64 v171, v[209:210], v[118:119] offset0:120 offset1:180
	ds_store_2addr_b64 v216, v[207:208], v[36:37] offset0:112 offset1:172
	v_add_co_u32 v36, s0, s8, v38
	s_wait_alu 0xf1ff
	v_add_co_ci_u32_e64 v37, s0, s9, v39, s0
	global_wb scope:SCOPE_SE
	s_wait_dscnt 0x0
	s_barrier_signal -1
	s_barrier_wait -1
	global_inv scope:SCOPE_SE
	global_load_b128 v[68:71], v[36:37], off offset:5600
	v_lshlrev_b64_e32 v[38:39], 4, v[130:131]
	v_lshlrev_b64_e32 v[40:41], 4, v[137:138]
	v_add_nc_u32_e32 v62, 0xffffffb8, v120
	v_and_b32_e32 v84, 0xffff, v139
	v_and_b32_e32 v85, 0xffff, v132
	v_and_b32_e32 v86, 0xffff, v141
	v_add_co_u32 v38, s0, s8, v38
	s_wait_alu 0xf1ff
	v_add_co_ci_u32_e64 v39, s0, s9, v39, s0
	v_cmp_gt_u32_e64 s0, 0x48, v120
	v_mul_u32_u24_e32 v84, 0x2d83, v84
	v_mul_u32_u24_e32 v85, 0x2d83, v85
	global_load_b128 v[72:75], v[38:39], off offset:5600
	v_and_b32_e32 v101, 0xffff, v128
	s_wait_alu 0xf1ff
	v_cndmask_b32_e64 v87, v62, v145, s0
	v_add_co_u32 v40, s0, s8, v40
	s_wait_alu 0xf1ff
	v_add_co_ci_u32_e64 v41, s0, s9, v41, s0
	s_delay_alu instid0(VALU_DEP_3)
	v_lshlrev_b64_e32 v[62:63], 4, v[87:88]
	v_lshrrev_b32_e32 v84, 22, v84
	v_mul_u32_u24_e32 v86, 0x2d83, v86
	global_load_b128 v[76:79], v[40:41], off offset:5600
	v_lshrrev_b32_e32 v85, 22, v85
	v_mul_u32_u24_e32 v105, 0x2d83, v101
	v_add_co_u32 v62, s0, s8, v62
	s_wait_alu 0xf1ff
	v_add_co_ci_u32_e64 v63, s0, s9, v63, s0
	s_clause 0x1
	global_load_b128 v[80:83], v[62:63], off offset:5600
	global_load_b128 v[89:92], v[36:37], off offset:5984
	v_and_b32_e32 v62, 0xffff, v133
	global_load_b128 v[93:96], v[36:37], off offset:7520
	v_mul_lo_u16 v84, 0x168, v84
	v_lshrrev_b32_e32 v86, 22, v86
	v_mul_lo_u16 v85, 0x168, v85
	v_mul_u32_u24_e32 v62, 0x2d83, v62
	v_and_b32_e32 v102, 0xffff, v135
	v_sub_nc_u16 v84, v139, v84
	v_and_b32_e32 v103, 0xffff, v142
	v_lshrrev_b32_e32 v109, 22, v105
	v_lshrrev_b32_e32 v63, 22, v62
	v_and_b32_e32 v62, 0xffff, v126
	v_mul_lo_u16 v105, 0x168, v86
	v_and_b32_e32 v131, 0xffff, v84
	v_sub_nc_u16 v84, v132, v85
	v_mul_lo_u16 v97, 0x168, v63
	v_mul_u32_u24_e32 v62, 0x2d83, v62
	v_mul_u32_u24_e32 v106, 0x2d83, v102
	;; [unrolled: 1-line block ×3, first 2 shown]
	v_sub_nc_u16 v105, v141, v105
	v_sub_nc_u16 v104, v133, v97
	global_load_b128 v[97:100], v[36:37], off offset:9056
	v_lshrrev_b32_e32 v62, 22, v62
	v_and_b32_e32 v136, 0xffff, v84
	v_lshrrev_b32_e32 v85, 22, v106
	v_and_b32_e32 v121, 0xffff, v104
	v_lshrrev_b32_e32 v84, 22, v107
	v_mul_lo_u16 v62, 0x168, v62
	v_and_b32_e32 v138, 0xffff, v105
	v_mul_lo_u16 v109, 0x168, v109
	v_lshlrev_b32_e32 v101, 4, v121
	v_mul_lo_u16 v85, 0x168, v85
	v_sub_nc_u16 v62, v126, v62
	v_lshlrev_b32_e32 v140, 4, v138
	v_mul_lo_u16 v84, 0x168, v84
	global_load_b128 v[101:104], v101, s[8:9] offset:5600
	v_sub_nc_u16 v85, v135, v85
	v_and_b32_e32 v134, 0xffff, v62
	v_lshlrev_b32_e32 v62, 4, v131
	v_cmp_lt_u32_e64 s0, 0x47, v120
	v_lshlrev_b32_e32 v87, 3, v87
	v_and_b32_e32 v171, 0xffff, v85
	v_lshlrev_b32_e32 v110, 4, v134
	global_load_b128 v[105:108], v62, s[8:9] offset:5600
	v_lshlrev_b32_e32 v62, 4, v136
	s_clause 0x1
	global_load_b128 v[112:115], v110, s[8:9] offset:5600
	global_load_b128 v[116:119], v62, s[8:9] offset:5600
	v_sub_nc_u16 v62, v128, v109
	global_load_b128 v[151:154], v140, s[8:9] offset:5600
	v_lshlrev_b32_e32 v85, 4, v171
	v_mul_u32_u24_e32 v207, 0x1680, v86
	v_mul_u32_u24_e32 v63, 0x1680, v63
	v_and_b32_e32 v140, 0xffff, v62
	v_sub_nc_u16 v62, v142, v84
	v_lshlrev_b32_e32 v121, 3, v121
	v_lshlrev_b32_e32 v138, 3, v138
	v_lshl_add_u32 v131, v131, 3, 0
	v_lshlrev_b32_e32 v84, 4, v140
	v_and_b32_e32 v203, 0xffff, v62
	s_clause 0x1
	global_load_b128 v[155:158], v84, s[8:9] offset:5600
	global_load_b128 v[159:162], v85, s[8:9] offset:5600
	v_lshlrev_b32_e32 v62, 4, v203
	ds_load_2addr_b64 v[167:170], v190 offset0:32 offset1:128
	ds_load_2addr_b64 v[193:196], v186 offset0:96 offset1:192
	v_lshl_add_u32 v134, v134, 3, 0
	v_lshl_add_u32 v136, v136, 3, 0
	global_load_b128 v[163:166], v62, s[8:9] offset:5600
	v_lshl_add_u32 v62, v120, 3, 0
	v_lshl_add_u32 v140, v140, 3, 0
	v_add3_u32 v121, 0, v63, v121
	v_add3_u32 v138, 0, v207, v138
	s_delay_alu instid0(VALU_DEP_4)
	v_add_nc_u32_e32 v204, 0x1400, v62
	v_add_nc_u32_e32 v205, 0x1c00, v62
	;; [unrolled: 1-line block ×4, first 2 shown]
	s_wait_loadcnt_dscnt 0xe01
	v_mul_f64_e32 v[84:85], v[167:168], v[70:71]
	v_mul_f64_e32 v[70:71], v[64:65], v[70:71]
	s_wait_loadcnt 0xd
	v_mul_f64_e32 v[109:110], v[169:170], v[74:75]
	v_mul_f64_e32 v[74:75], v[66:67], v[74:75]
	s_wait_loadcnt_dscnt 0xc00
	v_mul_f64_e32 v[197:198], v[193:194], v[78:79]
	v_mul_f64_e32 v[78:79], v[20:21], v[78:79]
	s_wait_loadcnt 0xb
	v_mul_f64_e32 v[199:200], v[195:196], v[82:83]
	v_mul_f64_e32 v[82:83], v[22:23], v[82:83]
	v_fma_f64 v[84:85], v[64:65], v[68:69], v[84:85]
	v_fma_f64 v[167:168], v[167:168], v[68:69], -v[70:71]
	ds_load_2addr_b64 v[68:71], v189 offset0:32 offset1:128
	v_fma_f64 v[109:110], v[66:67], v[72:73], v[109:110]
	v_fma_f64 v[169:170], v[169:170], v[72:73], -v[74:75]
	s_wait_loadcnt 0xa
	v_mul_f64_e32 v[74:75], v[16:17], v[91:92]
	ds_load_2addr_b64 v[64:67], v192 offset0:96 offset1:192
	s_wait_dscnt 0x1
	v_mul_f64_e32 v[72:73], v[68:69], v[91:92]
	v_fma_f64 v[91:92], v[20:21], v[76:77], v[197:198]
	v_fma_f64 v[76:77], v[193:194], v[76:77], -v[78:79]
	s_wait_loadcnt 0x9
	v_mul_f64_e32 v[78:79], v[70:71], v[95:96]
	v_mul_f64_e32 v[95:96], v[18:19], v[95:96]
	v_fma_f64 v[193:194], v[22:23], v[80:81], v[199:200]
	ds_load_2addr_b64 v[20:23], v111 offset0:32 offset1:128
	v_fma_f64 v[80:81], v[195:196], v[80:81], -v[82:83]
	s_wait_loadcnt_dscnt 0x801
	v_mul_f64_e32 v[197:198], v[64:65], v[99:100]
	v_mul_f64_e32 v[99:100], v[12:13], v[99:100]
	s_wait_loadcnt 0x7
	v_mul_f64_e32 v[82:83], v[66:67], v[103:104]
	v_add_f64_e64 v[84:85], v[52:53], -v[84:85]
	v_fma_f64 v[68:69], v[68:69], v[89:90], -v[74:75]
	v_fma_f64 v[195:196], v[16:17], v[89:90], v[72:73]
	ds_load_2addr_b64 v[72:75], v187 offset0:96 offset1:192
	v_mul_f64_e32 v[89:90], v[14:15], v[103:104]
	s_wait_loadcnt_dscnt 0x601
	v_mul_f64_e32 v[103:104], v[20:21], v[107:108]
	v_mul_f64_e32 v[107:108], v[8:9], v[107:108]
	v_fma_f64 v[78:79], v[18:19], v[93:94], v[78:79]
	v_fma_f64 v[70:71], v[70:71], v[93:94], -v[95:96]
	s_wait_loadcnt 0x5
	v_mul_f64_e32 v[93:94], v[22:23], v[114:115]
	ds_load_2addr_b64 v[16:19], v188 offset0:32 offset1:128
	v_mul_f64_e32 v[114:115], v[10:11], v[114:115]
	v_add_f64_e64 v[91:92], v[54:55], -v[91:92]
	v_fma_f64 v[12:13], v[12:13], v[97:98], v[197:198]
	v_fma_f64 v[64:65], v[64:65], v[97:98], -v[99:100]
	ds_load_b64 v[99:100], v179 offset:22272
	v_fma_f64 v[14:15], v[14:15], v[101:102], v[82:83]
	s_wait_loadcnt_dscnt 0x402
	v_mul_f64_e32 v[95:96], v[72:73], v[118:119]
	s_wait_loadcnt 0x3
	v_mul_f64_e32 v[97:98], v[74:75], v[153:154]
	s_wait_loadcnt_dscnt 0x201
	v_mul_f64_e32 v[82:83], v[16:17], v[157:158]
	s_wait_loadcnt 0x1
	v_mul_f64_e32 v[197:198], v[18:19], v[161:162]
	s_wait_loadcnt_dscnt 0x0
	v_mul_f64_e32 v[199:200], v[99:100], v[165:166]
	v_fma_f64 v[66:67], v[66:67], v[101:102], -v[89:90]
	v_fma_f64 v[8:9], v[8:9], v[105:106], v[103:104]
	v_mul_f64_e32 v[103:104], v[4:5], v[118:119]
	v_fma_f64 v[20:21], v[20:21], v[105:106], -v[107:108]
	v_mul_f64_e32 v[105:106], v[6:7], v[153:154]
	v_fma_f64 v[10:11], v[10:11], v[112:113], v[93:94]
	v_mul_f64_e32 v[93:94], v[0:1], v[157:158]
	v_mul_f64_e32 v[107:108], v[2:3], v[161:162]
	v_fma_f64 v[22:23], v[22:23], v[112:113], -v[114:115]
	ds_load_b64 v[89:90], v180
	ds_load_b64 v[101:102], v179
	v_add_f64_e64 v[112:113], v[48:49], -v[195:196]
	v_add_f64_e64 v[78:79], v[56:57], -v[78:79]
	;; [unrolled: 1-line block ×4, first 2 shown]
	v_fma_f64 v[4:5], v[4:5], v[116:117], v[95:96]
	v_mul_f64_e32 v[95:96], v[60:61], v[165:166]
	v_fma_f64 v[6:7], v[6:7], v[151:152], v[97:98]
	s_wait_alu 0xf1ff
	v_cndmask_b32_e64 v97, 0, 0x1680, s0
	v_fma_f64 v[0:1], v[0:1], v[155:156], v[82:83]
	ds_load_b64 v[82:83], v181
	v_add3_u32 v208, 0, v97, v87
	ds_load_b64 v[86:87], v127
	ds_load_b64 v[97:98], v129
	v_fma_f64 v[2:3], v[2:3], v[159:160], v[197:198]
	s_wait_dscnt 0x3
	v_add_f64_e64 v[157:158], v[101:102], -v[167:168]
	v_fma_f64 v[60:61], v[60:61], v[163:164], v[199:200]
	v_add_f64_e64 v[8:9], v[42:43], -v[8:9]
	v_fma_f64 v[72:73], v[72:73], v[116:117], -v[103:104]
	v_fma_f64 v[74:75], v[74:75], v[151:152], -v[105:106]
	v_add_f64_e64 v[10:11], v[32:33], -v[10:11]
	v_fma_f64 v[16:17], v[16:17], v[155:156], -v[93:94]
	v_fma_f64 v[18:19], v[18:19], v[159:160], -v[107:108]
	v_add_f64_e64 v[107:108], v[58:59], -v[109:110]
	v_add_f64_e64 v[109:110], v[46:47], -v[193:194]
	s_wait_dscnt 0x1
	v_add_f64_e64 v[159:160], v[86:87], -v[169:170]
	s_wait_dscnt 0x0
	v_add_f64_e64 v[76:77], v[97:98], -v[76:77]
	v_fma_f64 v[44:45], v[44:45], 2.0, -v[12:13]
	v_fma_f64 v[34:35], v[34:35], 2.0, -v[14:15]
	v_add_f64_e64 v[4:5], v[50:51], -v[4:5]
	v_fma_f64 v[93:94], v[99:100], v[163:164], -v[95:96]
	ds_load_b64 v[95:96], v184
	ds_load_b64 v[99:100], v185
	ds_load_b64 v[103:104], v172
	ds_load_b64 v[105:106], v173
	ds_load_b64 v[114:115], v174
	ds_load_b64 v[116:117], v175
	ds_load_b64 v[118:119], v176
	ds_load_b64 v[151:152], v177
	ds_load_b64 v[153:154], v178
	ds_load_b64 v[155:156], v191
	v_add_f64_e64 v[163:164], v[89:90], -v[70:71]
	v_add_f64_e64 v[6:7], v[28:29], -v[6:7]
	;; [unrolled: 1-line block ×3, first 2 shown]
	global_wb scope:SCOPE_SE
	s_wait_dscnt 0x0
	s_barrier_signal -1
	s_barrier_wait -1
	v_add_f64_e64 v[2:3], v[26:27], -v[2:3]
	v_fma_f64 v[101:102], v[101:102], 2.0, -v[157:158]
	global_inv scope:SCOPE_SE
	v_add_f64_e64 v[60:61], v[30:31], -v[60:61]
	v_add_f64_e64 v[80:81], v[95:96], -v[80:81]
	v_add_f64_e64 v[161:162], v[99:100], -v[68:69]
	v_add_f64_e64 v[165:166], v[103:104], -v[64:65]
	v_add_f64_e64 v[167:168], v[105:106], -v[66:67]
	v_add_f64_e64 v[169:170], v[114:115], -v[20:21]
	v_add_f64_e64 v[193:194], v[116:117], -v[22:23]
	v_add_f64_e64 v[195:196], v[82:83], -v[72:73]
	v_add_f64_e64 v[197:198], v[118:119], -v[74:75]
	v_add_f64_e64 v[199:200], v[151:152], -v[16:17]
	v_add_f64_e64 v[201:202], v[153:154], -v[18:19]
	v_fma_f64 v[16:17], v[52:53], 2.0, -v[84:85]
	v_fma_f64 v[18:19], v[58:59], 2.0, -v[107:108]
	;; [unrolled: 1-line block ×10, first 2 shown]
	v_add_f64_e64 v[93:94], v[155:156], -v[93:94]
	v_fma_f64 v[50:51], v[50:51], 2.0, -v[4:5]
	v_lshl_add_u32 v75, v171, 3, 0
	v_lshl_add_u32 v171, v203, 3, 0
	v_fma_f64 v[89:90], v[89:90], 2.0, -v[163:164]
	v_fma_f64 v[28:29], v[28:29], 2.0, -v[6:7]
	;; [unrolled: 1-line block ×5, first 2 shown]
	ds_store_b64 v179, v[84:85] offset:2880
	ds_store_b64 v179, v[16:17]
	ds_store_b64 v127, v[18:19]
	ds_store_b64 v127, v[107:108] offset:2880
	ds_store_b64 v129, v[20:21]
	ds_store_b64 v129, v[91:92] offset:2880
	;; [unrolled: 2-line block ×3, first 2 shown]
	ds_store_2addr_b64 v204, v[46:47], v[48:49] offset0:104 offset1:200
	ds_store_2addr_b64 v205, v[44:45], v[112:113] offset0:40 offset1:208
	;; [unrolled: 1-line block ×3, first 2 shown]
	ds_store_b64 v121, v[34:35]
	ds_store_b64 v121, v[14:15] offset:2880
	ds_store_b64 v131, v[42:43] offset:11520
	ds_store_b64 v131, v[8:9] offset:14400
	ds_store_b64 v134, v[32:33] offset:11520
	ds_store_b64 v134, v[10:11] offset:14400
	ds_store_b64 v136, v[50:51] offset:11520
	ds_store_b64 v136, v[4:5] offset:14400
	ds_store_b64 v138, v[28:29]
	ds_store_b64 v138, v[6:7] offset:2880
	ds_store_b64 v140, v[24:25] offset:17280
	;; [unrolled: 1-line block ×7, first 2 shown]
	v_fma_f64 v[95:96], v[95:96], 2.0, -v[80:81]
	v_fma_f64 v[99:100], v[99:100], 2.0, -v[161:162]
	;; [unrolled: 1-line block ×11, first 2 shown]
	global_wb scope:SCOPE_SE
	s_wait_dscnt 0x0
	s_barrier_signal -1
	s_barrier_wait -1
	global_inv scope:SCOPE_SE
	ds_load_b64 v[52:53], v179
	ds_load_b64 v[48:49], v184
	;; [unrolled: 1-line block ×15, first 2 shown]
	ds_load_b64 v[60:61], v179 offset:22272
	ds_load_2addr_b64 v[63:66], v190 offset0:32 offset1:128
	ds_load_2addr_b64 v[67:70], v186 offset0:96 offset1:192
	;; [unrolled: 1-line block ×7, first 2 shown]
	global_wb scope:SCOPE_SE
	s_wait_dscnt 0x0
	s_barrier_signal -1
	s_barrier_wait -1
	global_inv scope:SCOPE_SE
	ds_store_b64 v179, v[101:102]
	ds_store_b64 v179, v[157:158] offset:2880
	ds_store_b64 v127, v[86:87]
	ds_store_b64 v127, v[159:160] offset:2880
	;; [unrolled: 2-line block ×4, first 2 shown]
	ds_store_2addr_b64 v204, v[99:100], v[89:90] offset0:104 offset1:200
	ds_store_2addr_b64 v205, v[103:104], v[161:162] offset0:40 offset1:208
	;; [unrolled: 1-line block ×3, first 2 shown]
	ds_store_b64 v121, v[105:106]
	ds_store_b64 v121, v[167:168] offset:2880
	ds_store_b64 v131, v[114:115] offset:11520
	;; [unrolled: 1-line block ×7, first 2 shown]
	ds_store_b64 v138, v[118:119]
	ds_store_b64 v138, v[197:198] offset:2880
	ds_store_b64 v140, v[151:152] offset:17280
	;; [unrolled: 1-line block ×7, first 2 shown]
	global_wb scope:SCOPE_SE
	s_wait_dscnt 0x0
	s_barrier_signal -1
	s_barrier_wait -1
	global_inv scope:SCOPE_SE
	s_clause 0x1
	global_load_b128 v[75:78], v[36:37], off offset:11360
	global_load_b128 v[79:82], v[38:39], off offset:11360
	v_lshlrev_b64_e32 v[28:29], 4, v[145:146]
	global_load_b128 v[83:86], v[40:41], off offset:11360
	v_lshlrev_b64_e32 v[44:45], 4, v[149:150]
	v_add_nc_u32_e32 v131, 0x2c00, v62
	v_add_nc_u32_e32 v134, 0x4800, v62
	;; [unrolled: 1-line block ×3, first 2 shown]
	v_add_co_u32 v42, s0, s8, v28
	s_wait_alu 0xf1ff
	v_add_co_ci_u32_e64 v43, s0, s9, v29, s0
	v_lshlrev_b64_e32 v[28:29], 4, v[147:148]
	v_add_nc_u32_e32 v138, 0x4c00, v62
	v_add_nc_u32_e32 v140, 0x3800, v62
	global_load_b128 v[89:92], v[42:43], off offset:11360
	v_add_nc_u32_e32 v62, 0x5000, v62
	v_add_co_u32 v32, s0, s8, v28
	s_wait_alu 0xf1ff
	v_add_co_ci_u32_e64 v33, s0, s9, v29, s0
	v_add_co_u32 v28, s0, s8, v44
	s_wait_alu 0xf1ff
	v_add_co_ci_u32_e64 v29, s0, s9, v45, s0
	s_clause 0x1
	global_load_b128 v[93:96], v[32:33], off offset:11360
	global_load_b128 v[97:100], v[28:29], off offset:11360
	v_subrev_nc_u32_e32 v44, 48, v120
	v_cmp_gt_u32_e64 s0, 48, v120
	s_wait_alu 0xf1ff
	s_delay_alu instid0(VALU_DEP_1) | instskip(SKIP_1) | instid1(VALU_DEP_2)
	v_cndmask_b32_e64 v87, v44, v133, s0
	v_lshlrev_b64_e32 v[44:45], 4, v[143:144]
	v_lshlrev_b64_e32 v[101:102], 4, v[87:88]
	v_lshlrev_b32_e32 v87, 3, v87
	s_delay_alu instid0(VALU_DEP_3) | instskip(SKIP_1) | instid1(VALU_DEP_4)
	v_add_co_u32 v44, s0, s8, v44
	s_wait_alu 0xf1ff
	v_add_co_ci_u32_e64 v45, s0, s9, v45, s0
	s_delay_alu instid0(VALU_DEP_4)
	v_add_co_u32 v105, s0, s8, v101
	s_wait_alu 0xf1ff
	v_add_co_ci_u32_e64 v106, s0, s9, v102, s0
	s_clause 0x8
	global_load_b128 v[101:104], v[44:45], off offset:11360
	global_load_b128 v[105:108], v[105:106], off offset:11360
	;; [unrolled: 1-line block ×9, first 2 shown]
	ds_load_2addr_b64 v[163:166], v190 offset0:32 offset1:128
	ds_load_2addr_b64 v[167:170], v186 offset0:96 offset1:192
	;; [unrolled: 1-line block ×3, first 2 shown]
	v_cmp_lt_u32_e64 s0, 47, v120
	s_wait_alu 0xf1ff
	s_delay_alu instid0(VALU_DEP_1) | instskip(NEXT) | instid1(VALU_DEP_1)
	v_cndmask_b32_e64 v121, 0, 0x2d00, s0
	v_add3_u32 v87, 0, v121, v87
	s_wait_loadcnt_dscnt 0xe02
	v_mul_f64_e32 v[109:110], v[163:164], v[77:78]
	v_mul_f64_e32 v[77:78], v[63:64], v[77:78]
	s_wait_loadcnt 0xd
	v_mul_f64_e32 v[197:198], v[165:166], v[81:82]
	s_wait_loadcnt_dscnt 0xc01
	v_mul_f64_e32 v[199:200], v[167:168], v[85:86]
	v_mul_f64_e32 v[85:86], v[67:68], v[85:86]
	v_mul_f64_e32 v[81:82], v[65:66], v[81:82]
	s_wait_loadcnt 0xb
	v_mul_f64_e32 v[201:202], v[169:170], v[91:92]
	v_mul_f64_e32 v[91:92], v[69:70], v[91:92]
	s_wait_loadcnt_dscnt 0xa00
	v_mul_f64_e32 v[203:204], v[193:194], v[95:96]
	v_mul_f64_e32 v[95:96], v[71:72], v[95:96]
	s_wait_loadcnt 0x9
	v_mul_f64_e32 v[205:206], v[195:196], v[99:100]
	v_mul_f64_e32 v[99:100], v[73:74], v[99:100]
	v_fma_f64 v[109:110], v[63:64], v[75:76], v[109:110]
	v_fma_f64 v[163:164], v[163:164], v[75:76], -v[77:78]
	v_fma_f64 v[197:198], v[65:66], v[79:80], v[197:198]
	ds_load_2addr_b64 v[63:66], v192 offset0:96 offset1:192
	ds_load_2addr_b64 v[75:78], v111 offset0:32 offset1:128
	v_fma_f64 v[199:200], v[67:68], v[83:84], v[199:200]
	v_fma_f64 v[83:84], v[167:168], v[83:84], -v[85:86]
	v_fma_f64 v[165:166], v[165:166], v[79:80], -v[81:82]
	ds_load_2addr_b64 v[79:82], v187 offset0:96 offset1:192
	v_fma_f64 v[85:86], v[69:70], v[89:90], v[201:202]
	ds_load_2addr_b64 v[67:70], v188 offset0:32 offset1:128
	v_fma_f64 v[89:90], v[169:170], v[89:90], -v[91:92]
	s_wait_loadcnt_dscnt 0x803
	v_mul_f64_e32 v[91:92], v[63:64], v[103:104]
	v_mul_f64_e32 v[103:104], v[12:13], v[103:104]
	s_wait_loadcnt 0x7
	v_mul_f64_e32 v[167:168], v[65:66], v[107:108]
	s_wait_loadcnt_dscnt 0x602
	v_mul_f64_e32 v[169:170], v[75:76], v[114:115]
	v_fma_f64 v[71:72], v[71:72], v[93:94], v[203:204]
	v_fma_f64 v[93:94], v[193:194], v[93:94], -v[95:96]
	s_wait_loadcnt 0x5
	v_mul_f64_e32 v[95:96], v[77:78], v[118:119]
	v_fma_f64 v[73:74], v[73:74], v[97:98], v[205:206]
	v_fma_f64 v[97:98], v[195:196], v[97:98], -v[99:100]
	ds_load_b64 v[195:196], v179 offset:22272
	ds_load_b64 v[205:206], v180
	ds_load_b64 v[207:208], v179
	s_wait_loadcnt_dscnt 0x404
	v_mul_f64_e32 v[193:194], v[79:80], v[145:146]
	s_wait_loadcnt 0x3
	v_mul_f64_e32 v[201:202], v[81:82], v[149:150]
	s_wait_loadcnt_dscnt 0x103
	v_mul_f64_e32 v[99:100], v[69:70], v[157:158]
	v_mul_f64_e32 v[203:204], v[67:68], v[153:154]
	v_add_f64_e64 v[109:110], v[52:53], -v[109:110]
	v_add_f64_e64 v[85:86], v[48:49], -v[85:86]
	v_fma_f64 v[12:13], v[12:13], v[101:102], v[91:92]
	v_fma_f64 v[63:64], v[63:64], v[101:102], -v[103:104]
	s_wait_loadcnt_dscnt 0x2
	v_mul_f64_e32 v[101:102], v[195:196], v[161:162]
	v_mul_f64_e32 v[91:92], v[14:15], v[107:108]
	;; [unrolled: 1-line block ×5, first 2 shown]
	v_fma_f64 v[10:11], v[10:11], v[116:117], v[95:96]
	v_mul_f64_e32 v[95:96], v[4:5], v[145:146]
	v_mul_f64_e32 v[118:119], v[0:1], v[153:154]
	;; [unrolled: 1-line block ×3, first 2 shown]
	v_fma_f64 v[14:15], v[14:15], v[105:106], v[167:168]
	v_fma_f64 v[8:9], v[8:9], v[112:113], v[169:170]
	;; [unrolled: 1-line block ×4, first 2 shown]
	v_mul_f64_e32 v[99:100], v[60:61], v[161:162]
	v_fma_f64 v[6:7], v[6:7], v[147:148], v[201:202]
	v_fma_f64 v[0:1], v[0:1], v[151:152], v[203:204]
	v_add_f64_e64 v[71:72], v[46:47], -v[71:72]
	v_add_f64_e64 v[73:74], v[54:55], -v[73:74]
	ds_load_b64 v[149:150], v181
	s_wait_dscnt 0x1
	v_add_f64_e64 v[193:194], v[207:208], -v[163:164]
	v_add_f64_e64 v[97:98], v[205:206], -v[97:98]
	v_fma_f64 v[52:53], v[52:53], 2.0, -v[109:110]
	v_fma_f64 v[48:49], v[48:49], 2.0, -v[85:86]
	v_add_f64_e64 v[12:13], v[24:25], -v[12:13]
	v_fma_f64 v[60:61], v[60:61], v[159:160], v[101:102]
	v_fma_f64 v[65:66], v[65:66], v[105:106], -v[91:92]
	v_fma_f64 v[75:76], v[75:76], v[112:113], -v[103:104]
	v_fma_f64 v[77:78], v[77:78], v[116:117], -v[107:108]
	v_fma_f64 v[81:82], v[81:82], v[147:148], -v[114:115]
	v_add_f64_e64 v[112:113], v[58:59], -v[197:198]
	v_fma_f64 v[79:80], v[79:80], v[143:144], -v[95:96]
	v_fma_f64 v[67:68], v[67:68], v[151:152], -v[118:119]
	;; [unrolled: 1-line block ×3, first 2 shown]
	v_add_f64_e64 v[114:115], v[56:57], -v[199:200]
	v_add_f64_e64 v[14:15], v[16:17], -v[14:15]
	;; [unrolled: 1-line block ×4, first 2 shown]
	v_fma_f64 v[95:96], v[195:196], v[159:160], -v[99:100]
	ds_load_b64 v[91:92], v127
	ds_load_b64 v[101:102], v129
	;; [unrolled: 1-line block ×12, first 2 shown]
	v_add_f64_e64 v[4:5], v[50:51], -v[4:5]
	v_add_f64_e64 v[6:7], v[18:19], -v[6:7]
	;; [unrolled: 1-line block ×4, first 2 shown]
	v_fma_f64 v[46:47], v[46:47], 2.0, -v[71:72]
	v_fma_f64 v[54:55], v[54:55], 2.0, -v[73:74]
	global_wb scope:SCOPE_SE
	s_wait_dscnt 0x0
	s_barrier_signal -1
	s_barrier_wait -1
	global_inv scope:SCOPE_SE
	v_fma_f64 v[197:198], v[207:208], 2.0, -v[193:194]
	v_fma_f64 v[199:200], v[205:206], 2.0, -v[97:98]
	v_add_f64_e64 v[89:90], v[99:100], -v[89:90]
	v_add_f64_e64 v[195:196], v[91:92], -v[165:166]
	;; [unrolled: 1-line block ×4, first 2 shown]
	v_fma_f64 v[24:25], v[24:25], 2.0, -v[12:13]
	v_add_f64_e64 v[63:64], v[105:106], -v[63:64]
	v_add_f64_e64 v[60:61], v[34:35], -v[60:61]
	;; [unrolled: 1-line block ×6, first 2 shown]
	v_fma_f64 v[58:59], v[58:59], 2.0, -v[112:113]
	v_add_f64_e64 v[79:80], v[149:150], -v[79:80]
	v_add_f64_e64 v[67:68], v[145:146], -v[67:68]
	;; [unrolled: 1-line block ×3, first 2 shown]
	v_fma_f64 v[56:57], v[56:57], 2.0, -v[114:115]
	v_fma_f64 v[16:17], v[16:17], 2.0, -v[14:15]
	;; [unrolled: 1-line block ×4, first 2 shown]
	v_add_f64_e64 v[95:96], v[151:152], -v[95:96]
	v_fma_f64 v[50:51], v[50:51], 2.0, -v[4:5]
	v_fma_f64 v[18:19], v[18:19], 2.0, -v[6:7]
	;; [unrolled: 1-line block ×10, first 2 shown]
	ds_store_b64 v179, v[109:110] offset:5760
	ds_store_b64 v179, v[52:53]
	ds_store_b64 v127, v[58:59]
	ds_store_b64 v127, v[112:113] offset:5760
	ds_store_b64 v129, v[56:57]
	ds_store_b64 v129, v[114:115] offset:5760
	;; [unrolled: 2-line block ×7, first 2 shown]
	ds_store_2addr_b64 v131, v[26:27], v[30:31] offset0:80 offset1:176
	ds_store_2addr_b64 v134, v[10:11], v[4:5] offset1:96
	ds_store_2addr_b64 v136, v[50:51], v[18:19] offset0:144 offset1:240
	ds_store_2addr_b64 v138, v[6:7], v[0:1] offset0:64 offset1:160
	;; [unrolled: 1-line block ×5, first 2 shown]
	v_fma_f64 v[201:202], v[116:117], 2.0, -v[75:76]
	v_fma_f64 v[203:204], v[118:119], 2.0, -v[77:78]
	;; [unrolled: 1-line block ×7, first 2 shown]
	global_wb scope:SCOPE_SE
	s_wait_dscnt 0x0
	s_barrier_signal -1
	s_barrier_wait -1
	global_inv scope:SCOPE_SE
	ds_load_b64 v[162:163], v179
	ds_load_2addr_b64 v[16:19], v190 offset0:32 offset1:128
	ds_load_b64 v[160:161], v184
	ds_load_b64 v[158:159], v185
	;; [unrolled: 1-line block ×14, first 2 shown]
	ds_load_b64 v[170:171], v179 offset:22272
	ds_load_2addr_b64 v[20:23], v186 offset0:96 offset1:192
	ds_load_2addr_b64 v[24:27], v189 offset0:32 offset1:128
	;; [unrolled: 1-line block ×6, first 2 shown]
	v_fma_f64 v[107:108], v[107:108], 2.0, -v[65:66]
	global_wb scope:SCOPE_SE
	s_wait_dscnt 0x0
	s_barrier_signal -1
	s_barrier_wait -1
	global_inv scope:SCOPE_SE
	ds_store_b64 v179, v[197:198]
	ds_store_b64 v179, v[193:194] offset:5760
	ds_store_b64 v127, v[91:92]
	ds_store_b64 v127, v[195:196] offset:5760
	;; [unrolled: 2-line block ×8, first 2 shown]
	ds_store_2addr_b64 v131, v[201:202], v[203:204] offset0:80 offset1:176
	ds_store_2addr_b64 v134, v[77:78], v[79:80] offset1:96
	ds_store_2addr_b64 v136, v[205:206], v[207:208] offset0:144 offset1:240
	ds_store_2addr_b64 v138, v[81:82], v[67:68] offset0:64 offset1:160
	;; [unrolled: 1-line block ×5, first 2 shown]
	global_wb scope:SCOPE_SE
	s_wait_dscnt 0x0
	s_barrier_signal -1
	s_barrier_wait -1
	global_inv scope:SCOPE_SE
	s_and_saveexec_b32 s0, vcc_lo
	s_cbranch_execz .LBB0_15
; %bb.14:
	s_clause 0x5
	global_load_b128 v[28:31], v[28:29], off offset:22880
	global_load_b128 v[32:35], v[32:33], off offset:22880
	;; [unrolled: 1-line block ×6, first 2 shown]
	v_dual_mov_b32 v134, v88 :: v_dual_mov_b32 v143, v88
	global_load_b128 v[72:75], v[44:45], off offset:22880
	v_dual_mov_b32 v136, v88 :: v_dual_mov_b32 v129, v88
	v_lshlrev_b64_e32 v[36:37], 4, v[133:134]
	v_dual_mov_b32 v127, v88 :: v_dual_mov_b32 v140, v88
	s_delay_alu instid0(VALU_DEP_3)
	v_lshlrev_b64_e32 v[38:39], 4, v[135:136]
	v_mul_i32_i24_e32 v193, 0xffffffb8, v137
	v_mad_co_u64_u32 v[136:137], null, s2, v124, 0
	v_add_co_u32 v36, vcc_lo, s8, v36
	s_wait_alu 0xfffd
	v_add_co_ci_u32_e32 v37, vcc_lo, s9, v37, vcc_lo
	v_lshlrev_b64_e32 v[42:43], 4, v[126:127]
	v_mov_b32_e32 v133, v88
	v_add_nc_u32_e32 v195, 0x360, v120
	global_load_b128 v[56:59], v[36:37], off offset:22880
	v_lshlrev_b64_e32 v[36:37], 4, v[142:143]
	v_mov_b32_e32 v142, v88
	v_lshlrev_b64_e32 v[40:41], 4, v[132:133]
	v_lshlrev_b64_e32 v[44:45], 4, v[139:140]
	v_mul_lo_u32 v143, s3, v124
	v_add_nc_u32_e32 v203, v183, v193
	v_add_co_u32 v36, vcc_lo, s8, v36
	s_wait_alu 0xfffd
	v_add_co_ci_u32_e32 v37, vcc_lo, s9, v37, vcc_lo
	v_lshrrev_b32_e32 v198, 5, v195
	v_add_nc_u32_e32 v210, 0x3c0, v120
	global_load_b128 v[68:71], v[36:37], off offset:22880
	v_add_co_u32 v36, vcc_lo, s8, v38
	s_wait_alu 0xfffd
	v_add_co_ci_u32_e32 v37, vcc_lo, s9, v39, vcc_lo
	v_lshlrev_b64_e32 v[38:39], 4, v[141:142]
	v_mul_i32_i24_e32 v142, 0xffffffb8, v130
	v_lshrrev_b32_e32 v211, 5, v210
	global_load_b128 v[64:67], v[36:37], off offset:22880
	v_lshlrev_b64_e32 v[36:37], 4, v[128:129]
	v_add_nc_u32_e32 v204, v182, v142
	s_delay_alu instid0(VALU_DEP_2) | instskip(SKIP_1) | instid1(VALU_DEP_3)
	v_add_co_u32 v36, vcc_lo, s8, v36
	s_wait_alu 0xfffd
	v_add_co_ci_u32_e32 v37, vcc_lo, s9, v37, vcc_lo
	v_add_co_u32 v38, vcc_lo, s8, v38
	s_wait_alu 0xfffd
	v_add_co_ci_u32_e32 v39, vcc_lo, s9, v39, vcc_lo
	;; [unrolled: 3-line block ×4, first 2 shown]
	s_clause 0x2
	global_load_b128 v[48:51], v[36:37], off offset:22880
	global_load_b128 v[36:39], v[38:39], off offset:22880
	;; [unrolled: 1-line block ×3, first 2 shown]
	v_add_co_u32 v44, vcc_lo, s8, v44
	s_wait_alu 0xfffd
	v_add_co_ci_u32_e32 v45, vcc_lo, s9, v45, vcc_lo
	s_clause 0x1
	global_load_b128 v[52:55], v[46:47], off offset:22880
	global_load_b128 v[44:47], v[44:45], off offset:22880
	ds_load_2addr_b64 v[88:91], v189 offset0:32 offset1:128
	v_mul_lo_u32 v189, s2, v125
	ds_load_b64 v[130:131], v191
	ds_load_b64 v[128:129], v178
	ds_load_2addr_b64 v[100:103], v188 offset0:32 offset1:128
	ds_load_2addr_b64 v[96:99], v187 offset0:96 offset1:192
	;; [unrolled: 1-line block ×3, first 2 shown]
	ds_load_b64 v[134:135], v177
	ds_load_b64 v[132:133], v176
	ds_load_b64 v[126:127], v175
	ds_load_b64 v[124:125], v174
	ds_load_2addr_b64 v[104:107], v192 offset0:96 offset1:192
	ds_load_2addr_b64 v[112:115], v186 offset0:96 offset1:192
	;; [unrolled: 1-line block ×3, first 2 shown]
	v_lshrrev_b32_e32 v176, 5, v120
	v_add_nc_u32_e32 v186, 0xc0, v120
	v_add_nc_u32_e32 v187, 0x120, v120
	;; [unrolled: 1-line block ×4, first 2 shown]
	v_lshlrev_b64_e32 v[174:175], 4, v[122:123]
	ds_load_b64 v[121:122], v173
	ds_load_b64 v[138:139], v172
	;; [unrolled: 1-line block ×4, first 2 shown]
	v_mul_hi_u32 v123, 0x5b05b06, v176
	v_lshrrev_b32_e32 v177, 5, v186
	v_lshrrev_b32_e32 v183, 5, v187
	;; [unrolled: 1-line block ×4, first 2 shown]
	v_add3_u32 v137, v137, v189, v143
	v_mul_hi_u32 v199, 0x5b05b06, v177
	v_mul_hi_u32 v200, 0x5b05b06, v183
	v_mul_hi_u32 v201, 0x5b05b06, v184
	v_mul_hi_u32 v202, 0x5b05b06, v185
	v_mul_u32_u24_e32 v142, 0x5a0, v123
	v_mul_hi_u32 v123, 0x5b05b06, v198
	v_lshlrev_b64_e32 v[136:137], 4, v[136:137]
	v_mul_u32_u24_e32 v183, 0x5a0, v199
	s_delay_alu instid0(VALU_DEP_4)
	v_sub_nc_u32_e32 v198, v120, v142
	v_mul_u32_u24_e32 v184, 0x5a0, v200
	v_mul_u32_u24_e32 v185, 0x5a0, v201
	;; [unrolled: 1-line block ×4, first 2 shown]
	v_sub_nc_u32_e32 v186, v186, v183
	v_sub_nc_u32_e32 v184, v187, v184
	;; [unrolled: 1-line block ×4, first 2 shown]
	v_add_nc_u32_e32 v190, 0x5a0, v198
	v_sub_nc_u32_e32 v209, v195, v209
	v_mad_u32_u24 v195, 0xb40, v199, v186
	v_mad_u32_u24 v199, 0xb40, v200, v184
	;; [unrolled: 1-line block ×3, first 2 shown]
	v_mad_co_u64_u32 v[186:187], null, s16, v190, 0
	v_add_nc_u32_e32 v178, 0x60, v120
	v_mad_u32_u24 v201, 0xb40, v202, v188
	v_mad_co_u64_u32 v[184:185], null, s16, v198, 0
	s_delay_alu instid0(VALU_DEP_3) | instskip(NEXT) | instid1(VALU_DEP_3)
	v_lshrrev_b32_e32 v176, 5, v178
	v_add_nc_u32_e32 v205, 0x5a0, v201
	s_delay_alu instid0(VALU_DEP_2) | instskip(NEXT) | instid1(VALU_DEP_1)
	v_mul_hi_u32 v189, 0x5b05b06, v176
	v_mul_u32_u24_e32 v182, 0x5a0, v189
	s_delay_alu instid0(VALU_DEP_1) | instskip(NEXT) | instid1(VALU_DEP_1)
	v_sub_nc_u32_e32 v178, v178, v182
	v_mad_u32_u24 v178, 0xb40, v189, v178
	s_wait_loadcnt 0xe
	v_mul_f64_e32 v[142:143], v[26:27], v[30:31]
	s_wait_dscnt 0x10
	v_mul_f64_e32 v[176:177], v[90:91], v[30:31]
	v_add_co_u32 v30, vcc_lo, s6, v136
	s_wait_alu 0xfffd
	v_add_co_ci_u32_e32 v31, vcc_lo, s7, v137, vcc_lo
	s_wait_loadcnt 0xd
	v_mul_f64_e32 v[136:137], v[24:25], v[34:35]
	v_mul_f64_e32 v[34:35], v[88:89], v[34:35]
	v_add_co_u32 v30, vcc_lo, v30, v174
	s_wait_loadcnt 0xc
	v_mul_f64_e32 v[182:183], v[22:23], v[62:63]
	s_wait_dscnt 0x5
	v_mul_f64_e32 v[62:63], v[114:115], v[62:63]
	s_wait_alu 0xfffd
	v_add_co_ci_u32_e32 v31, vcc_lo, v31, v175, vcc_lo
	s_wait_loadcnt 0xb
	v_mul_f64_e32 v[174:175], v[20:21], v[78:79]
	v_mul_f64_e32 v[78:79], v[112:113], v[78:79]
	s_wait_loadcnt 0xa
	v_mul_f64_e32 v[188:189], v[18:19], v[82:83]
	v_fma_f64 v[90:91], v[28:29], v[90:91], -v[142:143]
	v_fma_f64 v[26:27], v[26:27], v[28:29], v[176:177]
	s_wait_dscnt 0x4
	v_mul_f64_e32 v[28:29], v[110:111], v[82:83]
	v_mov_b32_e32 v82, v185
	v_mad_co_u64_u32 v[142:143], null, s16, v178, 0
	v_fma_f64 v[88:89], v[32:33], v[88:89], -v[136:137]
	v_fma_f64 v[24:25], v[24:25], v[32:33], v[34:35]
	s_wait_loadcnt 0x9
	v_mul_f64_e32 v[34:35], v[108:109], v[86:87]
	v_mul_f64_e32 v[136:137], v[16:17], v[86:87]
	v_mad_co_u64_u32 v[86:87], null, s16, v199, 0
	v_add_nc_u32_e32 v191, 0x240, v120
	v_fma_f64 v[22:23], v[22:23], v[60:61], v[62:63]
	v_fma_f64 v[62:63], v[76:77], v[112:113], -v[174:175]
	v_fma_f64 v[20:21], v[20:21], v[76:77], v[78:79]
	v_mad_co_u64_u32 v[78:79], null, s17, v198, v[82:83]
	v_fma_f64 v[110:111], v[80:81], v[110:111], -v[188:189]
	v_dual_mov_b32 v79, v187 :: v_dual_add_nc_u32 v192, 0x2a0, v120
	v_fma_f64 v[114:115], v[60:61], v[114:115], -v[182:183]
	v_mad_co_u64_u32 v[60:61], null, s16, v200, 0
	v_mov_b32_e32 v185, v78
	s_delay_alu instid0(VALU_DEP_4) | instskip(SKIP_2) | instid1(VALU_DEP_3)
	v_lshrrev_b32_e32 v196, 5, v192
	v_mad_co_u64_u32 v[112:113], null, s16, v201, 0
	v_mad_co_u64_u32 v[182:183], null, s16, v205, 0
	v_mul_hi_u32 v196, 0x5b05b06, v196
	v_mad_co_u64_u32 v[32:33], null, s16, v195, 0
	s_delay_alu instid0(VALU_DEP_2) | instskip(SKIP_1) | instid1(VALU_DEP_2)
	v_mul_u32_u24_e32 v207, 0x5a0, v196
	v_fma_f64 v[18:19], v[18:19], v[80:81], v[28:29]
	v_sub_nc_u32_e32 v192, v192, v207
	v_fma_f64 v[16:17], v[16:17], v[84:85], v[34:35]
	v_mov_b32_e32 v34, v87
	v_lshrrev_b32_e32 v193, 5, v191
	s_delay_alu instid0(VALU_DEP_4) | instskip(SKIP_2) | instid1(VALU_DEP_4)
	v_mad_u32_u24 v196, 0xb40, v196, v192
	v_dual_mov_b32 v35, v61 :: v_dual_add_nc_u32 v192, 0x5a0, v195
	v_mov_b32_e32 v61, v113
	v_mul_hi_u32 v193, 0x5b05b06, v193
	v_fma_f64 v[108:109], v[84:85], v[108:109], -v[136:137]
	v_mad_co_u64_u32 v[76:77], null, s16, v196, 0
	s_delay_alu instid0(VALU_DEP_3) | instskip(NEXT) | instid1(VALU_DEP_1)
	v_mul_u32_u24_e32 v206, 0x5a0, v193
	v_sub_nc_u32_e32 v191, v191, v206
	s_delay_alu instid0(VALU_DEP_1) | instskip(SKIP_2) | instid1(VALU_DEP_3)
	v_mad_u32_u24 v202, 0xb40, v193, v191
	v_add_nc_u32_e32 v193, 0x5a0, v199
	v_add_nc_u32_e32 v191, 0x5a0, v178
	v_mad_co_u64_u32 v[174:175], null, s16, v202, 0
	s_delay_alu instid0(VALU_DEP_3) | instskip(NEXT) | instid1(VALU_DEP_3)
	v_mad_co_u64_u32 v[80:81], null, s16, v193, 0
	v_mad_co_u64_u32 v[82:83], null, s16, v191, 0
	v_add_nc_u32_e32 v194, 0x300, v120
	s_delay_alu instid0(VALU_DEP_3) | instskip(SKIP_4) | instid1(VALU_DEP_4)
	v_mad_co_u64_u32 v[187:188], null, s17, v190, v[79:80]
	v_mov_b32_e32 v79, v143
	v_mad_co_u64_u32 v[188:189], null, s17, v201, v[61:62]
	v_mov_b32_e32 v61, v183
	v_mad_co_u64_u32 v[28:29], null, s16, v192, 0
	v_mad_co_u64_u32 v[78:79], null, s17, v178, v[79:80]
	v_mov_b32_e32 v79, v83
	v_lshrrev_b32_e32 v197, 5, v194
	v_mad_co_u64_u32 v[83:84], null, s17, v195, v[33:34]
	v_mad_co_u64_u32 v[84:85], null, s17, v199, v[34:35]
	s_delay_alu instid0(VALU_DEP_3)
	v_mul_hi_u32 v197, 0x5b05b06, v197
	v_mad_co_u64_u32 v[189:190], null, s17, v191, v[79:80]
	v_mad_co_u64_u32 v[190:191], null, s17, v192, v[29:30]
	v_mov_b32_e32 v29, v175
	s_wait_loadcnt 0x3
	v_mad_co_u64_u32 v[34:35], null, s17, v200, v[35:36]
	v_mul_u32_u24_e32 v208, 0x5a0, v197
	v_mov_b32_e32 v33, v81
	v_mov_b32_e32 v143, v78
	v_lshlrev_b64_e32 v[183:184], 4, v[184:185]
	v_mov_b32_e32 v113, v188
	v_sub_nc_u32_e32 v194, v194, v208
	v_mad_co_u64_u32 v[191:192], null, s17, v193, v[33:34]
	v_mov_b32_e32 v87, v84
	v_add_co_u32 v201, vcc_lo, v30, v183
	s_delay_alu instid0(VALU_DEP_4) | instskip(SKIP_3) | instid1(VALU_DEP_4)
	v_mad_u32_u24 v197, 0xb40, v197, v194
	v_dual_mov_b32 v33, v77 :: v_dual_add_nc_u32 v194, 0x5a0, v200
	v_mov_b32_e32 v81, v191
	v_lshlrev_b64_e32 v[186:187], 4, v[186:187]
	v_mad_co_u64_u32 v[176:177], null, s16, v197, 0
	s_delay_alu instid0(VALU_DEP_4) | instskip(SKIP_4) | instid1(VALU_DEP_4)
	v_mad_co_u64_u32 v[136:137], null, s16, v194, 0
	v_add_nc_u32_e32 v206, 0x5a0, v197
	v_mad_co_u64_u32 v[77:78], null, s17, v196, v[33:34]
	v_mov_b32_e32 v33, v83
	v_mov_b32_e32 v83, v189
	v_mad_co_u64_u32 v[199:200], null, s16, v206, 0
	v_mov_b32_e32 v35, v137
	v_add_nc_u32_e32 v137, 0x5a0, v202
	v_lshlrev_b64_e32 v[142:143], 4, v[142:143]
	v_lshlrev_b64_e32 v[32:33], 4, v[32:33]
	;; [unrolled: 1-line block ×3, first 2 shown]
	v_mad_co_u64_u32 v[192:193], null, s17, v194, v[35:36]
	v_mad_co_u64_u32 v[193:194], null, s17, v205, v[61:62]
	;; [unrolled: 1-line block ×3, first 2 shown]
	v_mov_b32_e32 v29, v177
	v_mov_b32_e32 v61, v34
	v_mul_f64_e32 v[34:35], v[12:13], v[74:75]
	v_mul_f64_e32 v[74:75], v[104:105], v[74:75]
	v_add_nc_u32_e32 v205, 0x5a0, v196
	v_mad_co_u64_u32 v[78:79], null, s17, v197, v[29:30]
	v_mul_f64_e32 v[197:198], v[14:15], v[58:59]
	s_wait_alu 0xfffd
	v_add_co_ci_u32_e32 v202, vcc_lo, v31, v184, vcc_lo
	ds_load_b64 v[184:185], v181
	ds_load_b64 v[180:181], v180
	ds_load_b64 v[188:189], v179 offset:22272
	v_mad_co_u64_u32 v[195:196], null, s16, v137, 0
	v_mad_co_u64_u32 v[84:85], null, s16, v205, 0
	v_mov_b32_e32 v177, v78
	v_mov_b32_e32 v29, v190
	;; [unrolled: 1-line block ×3, first 2 shown]
	v_mul_f64_e32 v[58:59], v[106:107], v[58:59]
	v_dual_mov_b32 v78, v196 :: v_dual_mov_b32 v175, v194
	v_mov_b32_e32 v79, v85
	v_add_co_u32 v186, vcc_lo, v30, v186
	s_wait_alu 0xfffd
	v_add_co_ci_u32_e32 v187, vcc_lo, v31, v187, vcc_lo
	s_delay_alu instid0(VALU_DEP_3) | instskip(SKIP_3) | instid1(VALU_DEP_3)
	v_mad_co_u64_u32 v[190:191], null, s17, v137, v[78:79]
	v_dual_mov_b32 v78, v200 :: v_dual_mov_b32 v137, v192
	v_mad_co_u64_u32 v[191:192], null, s17, v205, v[79:80]
	v_add_co_u32 v142, vcc_lo, v30, v142
	v_mad_co_u64_u32 v[192:193], null, s17, v206, v[78:79]
	v_mul_f64_e32 v[78:79], v[170:171], v[70:71]
	s_delay_alu instid0(VALU_DEP_4)
	v_dual_mov_b32 v196, v190 :: v_dual_mov_b32 v85, v191
	s_wait_alu 0xfffd
	v_add_co_ci_u32_e32 v143, vcc_lo, v31, v143, vcc_lo
	v_fma_f64 v[34:35], v[72:73], v[104:105], -v[34:35]
	v_fma_f64 v[72:73], v[12:13], v[72:73], v[74:75]
	s_wait_dscnt 0x0
	v_mul_f64_e32 v[12:13], v[188:189], v[70:71]
	v_lshlrev_b64_e32 v[193:194], 4, v[84:85]
	v_fma_f64 v[70:71], v[56:57], v[106:107], -v[197:198]
	v_mul_f64_e32 v[106:107], v[10:11], v[66:67]
	v_mul_f64_e32 v[66:67], v[102:103], v[66:67]
	;; [unrolled: 1-line block ×3, first 2 shown]
	v_lshlrev_b64_e32 v[60:61], 4, v[60:61]
	v_lshlrev_b64_e32 v[112:113], 4, v[112:113]
	;; [unrolled: 1-line block ×4, first 2 shown]
	ds_load_b64 v[178:179], v179
	ds_load_b64 v[104:105], v203
	;; [unrolled: 1-line block ×3, first 2 shown]
	v_lshlrev_b64_e32 v[76:77], 4, v[76:77]
	v_fma_f64 v[56:57], v[14:15], v[56:57], v[58:59]
	v_mul_f64_e32 v[14:15], v[100:101], v[50:51]
	v_mul_f64_e32 v[50:51], v[6:7], v[38:39]
	;; [unrolled: 1-line block ×3, first 2 shown]
	s_wait_loadcnt 0x2
	v_mul_f64_e32 v[58:59], v[4:5], v[42:43]
	v_mul_f64_e32 v[42:43], v[96:97], v[42:43]
	v_lshlrev_b64_e32 v[82:83], 4, v[82:83]
	v_lshlrev_b64_e32 v[28:29], 4, v[28:29]
	;; [unrolled: 1-line block ×5, first 2 shown]
	v_mov_b32_e32 v200, v192
	v_fma_f64 v[78:79], v[68:69], v[188:189], -v[78:79]
	v_add_co_u32 v188, vcc_lo, v30, v32
	s_wait_alu 0xfffd
	v_add_co_ci_u32_e32 v189, vcc_lo, v31, v33, vcc_lo
	v_add_co_u32 v195, vcc_lo, v30, v86
	v_fma_f64 v[68:69], v[170:171], v[68:69], v[12:13]
	s_wait_loadcnt 0x1
	v_mul_f64_e32 v[12:13], v[2:3], v[54:55]
	v_mul_f64_e32 v[54:55], v[94:95], v[54:55]
	s_wait_loadcnt 0x0
	v_mul_f64_e32 v[170:171], v[0:1], v[46:47]
	v_fma_f64 v[102:103], v[64:65], v[102:103], -v[106:107]
	v_fma_f64 v[64:65], v[10:11], v[64:65], v[66:67]
	v_mul_f64_e32 v[10:11], v[92:93], v[46:47]
	s_wait_alu 0xfffd
	v_add_co_ci_u32_e32 v196, vcc_lo, v31, v87, vcc_lo
	v_add_co_u32 v197, vcc_lo, v30, v60
	s_wait_alu 0xfffd
	v_add_co_ci_u32_e32 v198, vcc_lo, v31, v61, vcc_lo
	v_add_co_u32 v203, vcc_lo, v30, v112
	;; [unrolled: 3-line block ×5, first 2 shown]
	s_wait_alu 0xfffd
	v_add_co_ci_u32_e32 v208, vcc_lo, v31, v83, vcc_lo
	v_fma_f64 v[46:47], v[48:49], v[100:101], -v[84:85]
	v_fma_f64 v[48:49], v[8:9], v[48:49], v[14:15]
	v_fma_f64 v[60:61], v[6:7], v[36:37], v[38:39]
	v_fma_f64 v[58:59], v[40:41], v[96:97], -v[58:59]
	v_fma_f64 v[66:67], v[4:5], v[40:41], v[42:43]
	s_wait_dscnt 0x2
	v_add_f64_e64 v[6:7], v[178:179], -v[108:109]
	v_add_f64_e64 v[4:5], v[162:163], -v[16:17]
	;; [unrolled: 1-line block ×3, first 2 shown]
	s_wait_dscnt 0x1
	v_add_f64_e64 v[14:15], v[104:105], -v[62:63]
	v_add_f64_e64 v[18:19], v[172:173], -v[114:115]
	v_fma_f64 v[76:77], v[52:53], v[94:95], -v[12:13]
	v_fma_f64 v[82:83], v[2:3], v[52:53], v[54:55]
	v_fma_f64 v[84:85], v[44:45], v[92:93], -v[170:171]
	v_add_f64_e64 v[12:13], v[166:167], -v[20:21]
	v_add_f64_e64 v[16:17], v[160:161], -v[22:23]
	v_fma_f64 v[86:87], v[0:1], v[44:45], v[10:11]
	s_wait_dscnt 0x0
	v_add_f64_e64 v[10:11], v[74:75], -v[110:111]
	v_add_f64_e64 v[22:23], v[140:141], -v[88:89]
	;; [unrolled: 1-line block ×10, first 2 shown]
	v_fma_f64 v[50:51], v[36:37], v[98:99], -v[50:51]
	v_add_f64_e64 v[36:37], v[156:157], -v[68:69]
	v_add_co_u32 v28, vcc_lo, v30, v28
	s_wait_alu 0xfffd
	v_add_co_ci_u32_e32 v29, vcc_lo, v31, v29, vcc_lo
	v_add_co_u32 v170, vcc_lo, v30, v80
	v_add_f64_e64 v[38:39], v[130:131], -v[78:79]
	s_wait_alu 0xfffd
	v_add_co_ci_u32_e32 v171, vcc_lo, v31, v81, vcc_lo
	v_add_f64_e64 v[40:41], v[150:151], -v[64:65]
	v_add_f64_e64 v[46:47], v[134:135], -v[46:47]
	;; [unrolled: 1-line block ×6, first 2 shown]
	v_fma_f64 v[70:71], v[178:179], 2.0, -v[6:7]
	v_fma_f64 v[68:69], v[162:163], 2.0, -v[4:5]
	v_fma_f64 v[72:73], v[168:169], 2.0, -v[8:9]
	v_fma_f64 v[78:79], v[104:105], 2.0, -v[14:15]
	v_add_f64_e64 v[58:59], v[126:127], -v[76:77]
	v_add_f64_e64 v[56:57], v[118:119], -v[82:83]
	;; [unrolled: 1-line block ×3, first 2 shown]
	v_fma_f64 v[76:77], v[166:167], 2.0, -v[12:13]
	v_fma_f64 v[82:83], v[172:173], 2.0, -v[18:19]
	v_add_f64_e64 v[60:61], v[116:117], -v[86:87]
	v_fma_f64 v[74:75], v[74:75], 2.0, -v[10:11]
	v_fma_f64 v[80:81], v[160:161], 2.0, -v[16:17]
	;; [unrolled: 1-line block ×11, first 2 shown]
	v_add_co_u32 v121, vcc_lo, v30, v136
	s_wait_alu 0xfffd
	v_add_co_ci_u32_e32 v122, vcc_lo, v31, v137, vcc_lo
	v_add_co_u32 v136, vcc_lo, v30, v182
	s_wait_alu 0xfffd
	v_add_co_ci_u32_e32 v137, vcc_lo, v31, v183, vcc_lo
	;; [unrolled: 3-line block ×3, first 2 shown]
	s_clause 0xe
	global_store_b128 v[201:202], v[68:71], off
	global_store_b128 v[186:187], v[4:7], off
	;; [unrolled: 1-line block ×15, first 2 shown]
	v_fma_f64 v[128:129], v[126:127], 2.0, -v[58:59]
	v_fma_f64 v[126:127], v[118:119], 2.0, -v[56:57]
	;; [unrolled: 1-line block ×4, first 2 shown]
	v_mul_hi_u32 v11, 0x5b05b06, v211
	v_mad_u32_u24 v10, 0xb40, v123, v209
	v_lshlrev_b64_e32 v[2:3], 4, v[176:177]
	v_add_co_u32 v0, vcc_lo, v30, v193
	v_lshlrev_b64_e32 v[6:7], 4, v[199:200]
	s_delay_alu instid0(VALU_DEP_4)
	v_add_nc_u32_e32 v13, 0x5a0, v10
	s_wait_alu 0xfffd
	v_add_co_ci_u32_e32 v1, vcc_lo, v31, v194, vcc_lo
	v_mul_u32_u24_e32 v12, 0x5a0, v11
	v_mad_co_u64_u32 v[4:5], null, s16, v10, 0
	v_add_co_u32 v2, vcc_lo, v30, v2
	s_wait_alu 0xfffd
	v_add_co_ci_u32_e32 v3, vcc_lo, v31, v3, vcc_lo
	v_mad_co_u64_u32 v[8:9], null, s16, v13, 0
	v_sub_nc_u32_e32 v12, v210, v12
	v_add_co_u32 v6, vcc_lo, v30, v6
	v_add_nc_u32_e32 v16, 0x420, v120
	s_wait_alu 0xfffd
	v_add_co_ci_u32_e32 v7, vcc_lo, v31, v7, vcc_lo
	v_mad_u32_u24 v15, 0xb40, v11, v12
	v_mad_co_u64_u32 v[10:11], null, s17, v10, v[5:6]
	v_mov_b32_e32 v5, v9
	global_store_b128 v[0:1], v[32:35], off
	v_mad_co_u64_u32 v[11:12], null, s16, v15, 0
	v_add_f64_e64 v[50:51], v[132:133], -v[50:51]
	v_mad_co_u64_u32 v[13:14], null, s17, v13, v[5:6]
	v_mov_b32_e32 v5, v10
	v_fma_f64 v[114:115], v[184:185], 2.0, -v[54:55]
	v_fma_f64 v[112:113], v[148:149], 2.0, -v[52:53]
	global_store_b128 v[2:3], v[116:119], off
	v_lshrrev_b32_e32 v3, 5, v16
	global_store_b128 v[6:7], v[60:63], off
	v_lshlrev_b64_e32 v[1:2], 4, v[4:5]
	v_dual_mov_b32 v0, v12 :: v_dual_mov_b32 v9, v13
	v_mul_hi_u32 v6, 0x5b05b06, v3
	v_add_nc_u32_e32 v10, 0x5a0, v15
	v_fma_f64 v[108:109], v[144:145], 2.0, -v[48:49]
	s_delay_alu instid0(VALU_DEP_4)
	v_mad_co_u64_u32 v[3:4], null, s17, v15, v[0:1]
	v_add_nc_u32_e32 v15, 0x480, v120
	v_lshlrev_b64_e32 v[4:5], 4, v[8:9]
	v_add_co_u32 v0, vcc_lo, v30, v1
	v_mul_u32_u24_e32 v7, 0x5a0, v6
	s_wait_alu 0xfffd
	v_add_co_ci_u32_e32 v1, vcc_lo, v31, v2, vcc_lo
	v_mov_b32_e32 v12, v3
	v_mad_co_u64_u32 v[2:3], null, s16, v10, 0
	v_sub_nc_u32_e32 v7, v16, v7
	v_add_co_u32 v4, vcc_lo, v30, v4
	s_wait_alu 0xfffd
	v_add_co_ci_u32_e32 v5, vcc_lo, v31, v5, vcc_lo
	s_delay_alu instid0(VALU_DEP_3) | instskip(SKIP_3) | instid1(VALU_DEP_4)
	v_mad_u32_u24 v13, 0xb40, v6, v7
	v_lshlrev_b64_e32 v[6:7], 4, v[11:12]
	v_lshrrev_b32_e32 v12, 5, v15
	v_mad_co_u64_u32 v[10:11], null, s17, v10, v[3:4]
	v_mad_co_u64_u32 v[8:9], null, s16, v13, 0
	s_delay_alu instid0(VALU_DEP_3)
	v_mul_hi_u32 v17, 0x5b05b06, v12
	v_add_nc_u32_e32 v16, 0x5a0, v13
	s_clause 0x1
	global_store_b128 v[0:1], v[126:129], off
	global_store_b128 v[4:5], v[56:59], off
	v_fma_f64 v[110:111], v[132:133], 2.0, -v[50:51]
	v_add_co_u32 v6, vcc_lo, v30, v6
	v_mov_b32_e32 v3, v9
	v_mad_co_u64_u32 v[11:12], null, s16, v16, 0
	v_mul_u32_u24_e32 v9, 0x5a0, v17
	s_wait_alu 0xfffd
	v_add_co_ci_u32_e32 v7, vcc_lo, v31, v7, vcc_lo
	v_mad_co_u64_u32 v[13:14], null, s17, v13, v[3:4]
	v_mov_b32_e32 v3, v10
	v_sub_nc_u32_e32 v4, v15, v9
	v_add_nc_u32_e32 v14, 0x4e0, v120
	global_store_b128 v[6:7], v[112:115], off
	v_fma_f64 v[106:107], v[134:135], 2.0, -v[46:47]
	v_lshlrev_b64_e32 v[0:1], 4, v[2:3]
	v_dual_mov_b32 v2, v12 :: v_dual_mov_b32 v9, v13
	v_mad_u32_u24 v13, 0xb40, v17, v4
	v_lshrrev_b32_e32 v7, 5, v14
	v_fma_f64 v[104:105], v[146:147], 2.0, -v[44:45]
	s_delay_alu instid0(VALU_DEP_4) | instskip(NEXT) | instid1(VALU_DEP_4)
	v_mad_co_u64_u32 v[2:3], null, s17, v16, v[2:3]
	v_mad_co_u64_u32 v[3:4], null, s16, v13, 0
	s_delay_alu instid0(VALU_DEP_4)
	v_mul_hi_u32 v15, 0x5b05b06, v7
	v_lshlrev_b64_e32 v[5:6], 4, v[8:9]
	v_add_co_u32 v0, vcc_lo, v30, v0
	v_mov_b32_e32 v12, v2
	s_wait_alu 0xfffd
	v_add_co_ci_u32_e32 v1, vcc_lo, v31, v1, vcc_lo
	v_mov_b32_e32 v2, v4
	v_add_co_u32 v5, vcc_lo, v30, v5
	v_lshlrev_b64_e32 v[7:8], 4, v[11:12]
	v_add_nc_u32_e32 v12, 0x5a0, v13
	s_delay_alu instid0(VALU_DEP_4) | instskip(SKIP_2) | instid1(VALU_DEP_4)
	v_mad_co_u64_u32 v[9:10], null, s17, v13, v[2:3]
	v_add_nc_u32_e32 v13, 0x540, v120
	v_mul_u32_u24_e32 v2, 0x5a0, v15
	v_mad_co_u64_u32 v[10:11], null, s16, v12, 0
	s_wait_alu 0xfffd
	v_add_co_ci_u32_e32 v6, vcc_lo, v31, v6, vcc_lo
	v_lshrrev_b32_e32 v16, 5, v13
	v_sub_nc_u32_e32 v2, v14, v2
	v_mov_b32_e32 v4, v9
	v_add_co_u32 v7, vcc_lo, v30, v7
	s_delay_alu instid0(VALU_DEP_4) | instskip(NEXT) | instid1(VALU_DEP_4)
	v_mul_hi_u32 v9, 0x5b05b06, v16
	v_mad_u32_u24 v14, 0xb40, v15, v2
	s_wait_alu 0xfffd
	v_add_co_ci_u32_e32 v8, vcc_lo, v31, v8, vcc_lo
	v_mov_b32_e32 v2, v11
	global_store_b128 v[0:1], v[52:55], off
	v_add_nc_u32_e32 v11, 0x5a0, v14
	s_clause 0x1
	global_store_b128 v[5:6], v[108:111], off
	global_store_b128 v[7:8], v[48:51], off
	v_mul_u32_u24_e32 v7, 0x5a0, v9
	v_lshlrev_b64_e32 v[0:1], 4, v[3:4]
	v_mad_co_u64_u32 v[3:4], null, s16, v14, 0
	v_mad_co_u64_u32 v[5:6], null, s16, v11, 0
	s_delay_alu instid0(VALU_DEP_4) | instskip(NEXT) | instid1(VALU_DEP_4)
	v_sub_nc_u32_e32 v13, v13, v7
	v_add_co_u32 v0, vcc_lo, v30, v0
	s_wait_alu 0xfffd
	v_add_co_ci_u32_e32 v1, vcc_lo, v31, v1, vcc_lo
	v_mad_co_u64_u32 v[7:8], null, s17, v12, v[2:3]
	v_mad_u32_u24 v17, 0xb40, v9, v13
	v_mov_b32_e32 v2, v6
	v_mad_co_u64_u32 v[8:9], null, s17, v14, v[4:5]
	v_fma_f64 v[100:101], v[150:151], 2.0, -v[40:41]
	s_delay_alu instid0(VALU_DEP_4)
	v_mad_co_u64_u32 v[12:13], null, s16, v17, 0
	v_add_nc_u32_e32 v9, 0x5a0, v17
	v_mad_co_u64_u32 v[14:15], null, s17, v11, v[2:3]
	v_mov_b32_e32 v11, v7
	v_fma_f64 v[98:99], v[130:131], 2.0, -v[38:39]
	v_fma_f64 v[96:97], v[156:157], 2.0, -v[36:37]
	v_mad_co_u64_u32 v[15:16], null, s16, v9, 0
	global_store_b128 v[0:1], v[104:107], off
	v_lshlrev_b64_e32 v[1:2], 4, v[10:11]
	v_mov_b32_e32 v0, v13
	v_mov_b32_e32 v4, v8
	;; [unrolled: 1-line block ×3, first 2 shown]
	s_delay_alu instid0(VALU_DEP_3)
	v_mad_co_u64_u32 v[7:8], null, s17, v17, v[0:1]
	v_mov_b32_e32 v0, v16
	v_add_co_u32 v1, vcc_lo, v30, v1
	v_lshlrev_b64_e32 v[3:4], 4, v[3:4]
	v_lshlrev_b64_e32 v[5:6], 4, v[5:6]
	s_wait_alu 0xfffd
	v_add_co_ci_u32_e32 v2, vcc_lo, v31, v2, vcc_lo
	v_mad_co_u64_u32 v[8:9], null, s17, v9, v[0:1]
	v_mov_b32_e32 v13, v7
	v_add_co_u32 v3, vcc_lo, v30, v3
	s_wait_alu 0xfffd
	v_add_co_ci_u32_e32 v4, vcc_lo, v31, v4, vcc_lo
	s_delay_alu instid0(VALU_DEP_3) | instskip(SKIP_4) | instid1(VALU_DEP_3)
	v_lshlrev_b64_e32 v[9:10], 4, v[12:13]
	v_mov_b32_e32 v16, v8
	v_add_co_u32 v5, vcc_lo, v30, v5
	s_wait_alu 0xfffd
	v_add_co_ci_u32_e32 v6, vcc_lo, v31, v6, vcc_lo
	v_lshlrev_b64_e32 v[7:8], 4, v[15:16]
	v_add_co_u32 v9, vcc_lo, v30, v9
	s_wait_alu 0xfffd
	v_add_co_ci_u32_e32 v10, vcc_lo, v31, v10, vcc_lo
	s_delay_alu instid0(VALU_DEP_3)
	v_add_co_u32 v7, vcc_lo, v30, v7
	s_wait_alu 0xfffd
	v_add_co_ci_u32_e32 v8, vcc_lo, v31, v8, vcc_lo
	s_clause 0x4
	global_store_b128 v[1:2], v[44:47], off
	global_store_b128 v[3:4], v[100:103], off
	;; [unrolled: 1-line block ×5, first 2 shown]
.LBB0_15:
	s_nop 0
	s_sendmsg sendmsg(MSG_DEALLOC_VGPRS)
	s_endpgm
	.section	.rodata,"a",@progbits
	.p2align	6, 0x0
	.amdhsa_kernel fft_rtc_back_len2880_factors_10_6_6_2_2_2_wgs_96_tpt_96_halfLds_dp_op_CI_CI_sbrr_dirReg
		.amdhsa_group_segment_fixed_size 0
		.amdhsa_private_segment_fixed_size 0
		.amdhsa_kernarg_size 104
		.amdhsa_user_sgpr_count 2
		.amdhsa_user_sgpr_dispatch_ptr 0
		.amdhsa_user_sgpr_queue_ptr 0
		.amdhsa_user_sgpr_kernarg_segment_ptr 1
		.amdhsa_user_sgpr_dispatch_id 0
		.amdhsa_user_sgpr_private_segment_size 0
		.amdhsa_wavefront_size32 1
		.amdhsa_uses_dynamic_stack 0
		.amdhsa_enable_private_segment 0
		.amdhsa_system_sgpr_workgroup_id_x 1
		.amdhsa_system_sgpr_workgroup_id_y 0
		.amdhsa_system_sgpr_workgroup_id_z 0
		.amdhsa_system_sgpr_workgroup_info 0
		.amdhsa_system_vgpr_workitem_id 0
		.amdhsa_next_free_vgpr 222
		.amdhsa_next_free_sgpr 43
		.amdhsa_reserve_vcc 1
		.amdhsa_float_round_mode_32 0
		.amdhsa_float_round_mode_16_64 0
		.amdhsa_float_denorm_mode_32 3
		.amdhsa_float_denorm_mode_16_64 3
		.amdhsa_fp16_overflow 0
		.amdhsa_workgroup_processor_mode 1
		.amdhsa_memory_ordered 1
		.amdhsa_forward_progress 0
		.amdhsa_round_robin_scheduling 0
		.amdhsa_exception_fp_ieee_invalid_op 0
		.amdhsa_exception_fp_denorm_src 0
		.amdhsa_exception_fp_ieee_div_zero 0
		.amdhsa_exception_fp_ieee_overflow 0
		.amdhsa_exception_fp_ieee_underflow 0
		.amdhsa_exception_fp_ieee_inexact 0
		.amdhsa_exception_int_div_zero 0
	.end_amdhsa_kernel
	.text
.Lfunc_end0:
	.size	fft_rtc_back_len2880_factors_10_6_6_2_2_2_wgs_96_tpt_96_halfLds_dp_op_CI_CI_sbrr_dirReg, .Lfunc_end0-fft_rtc_back_len2880_factors_10_6_6_2_2_2_wgs_96_tpt_96_halfLds_dp_op_CI_CI_sbrr_dirReg
                                        ; -- End function
	.section	.AMDGPU.csdata,"",@progbits
; Kernel info:
; codeLenInByte = 24132
; NumSgprs: 45
; NumVgprs: 222
; ScratchSize: 0
; MemoryBound: 1
; FloatMode: 240
; IeeeMode: 1
; LDSByteSize: 0 bytes/workgroup (compile time only)
; SGPRBlocks: 5
; VGPRBlocks: 27
; NumSGPRsForWavesPerEU: 45
; NumVGPRsForWavesPerEU: 222
; Occupancy: 6
; WaveLimiterHint : 1
; COMPUTE_PGM_RSRC2:SCRATCH_EN: 0
; COMPUTE_PGM_RSRC2:USER_SGPR: 2
; COMPUTE_PGM_RSRC2:TRAP_HANDLER: 0
; COMPUTE_PGM_RSRC2:TGID_X_EN: 1
; COMPUTE_PGM_RSRC2:TGID_Y_EN: 0
; COMPUTE_PGM_RSRC2:TGID_Z_EN: 0
; COMPUTE_PGM_RSRC2:TIDIG_COMP_CNT: 0
	.text
	.p2alignl 7, 3214868480
	.fill 96, 4, 3214868480
	.type	__hip_cuid_9c11542ea13994d7,@object ; @__hip_cuid_9c11542ea13994d7
	.section	.bss,"aw",@nobits
	.globl	__hip_cuid_9c11542ea13994d7
__hip_cuid_9c11542ea13994d7:
	.byte	0                               ; 0x0
	.size	__hip_cuid_9c11542ea13994d7, 1

	.ident	"AMD clang version 19.0.0git (https://github.com/RadeonOpenCompute/llvm-project roc-6.4.0 25133 c7fe45cf4b819c5991fe208aaa96edf142730f1d)"
	.section	".note.GNU-stack","",@progbits
	.addrsig
	.addrsig_sym __hip_cuid_9c11542ea13994d7
	.amdgpu_metadata
---
amdhsa.kernels:
  - .args:
      - .actual_access:  read_only
        .address_space:  global
        .offset:         0
        .size:           8
        .value_kind:     global_buffer
      - .offset:         8
        .size:           8
        .value_kind:     by_value
      - .actual_access:  read_only
        .address_space:  global
        .offset:         16
        .size:           8
        .value_kind:     global_buffer
      - .actual_access:  read_only
        .address_space:  global
        .offset:         24
        .size:           8
        .value_kind:     global_buffer
      - .actual_access:  read_only
        .address_space:  global
        .offset:         32
        .size:           8
        .value_kind:     global_buffer
      - .offset:         40
        .size:           8
        .value_kind:     by_value
      - .actual_access:  read_only
        .address_space:  global
        .offset:         48
        .size:           8
        .value_kind:     global_buffer
      - .actual_access:  read_only
        .address_space:  global
        .offset:         56
        .size:           8
        .value_kind:     global_buffer
      - .offset:         64
        .size:           4
        .value_kind:     by_value
      - .actual_access:  read_only
        .address_space:  global
        .offset:         72
        .size:           8
        .value_kind:     global_buffer
      - .actual_access:  read_only
        .address_space:  global
        .offset:         80
        .size:           8
        .value_kind:     global_buffer
      - .actual_access:  read_only
        .address_space:  global
        .offset:         88
        .size:           8
        .value_kind:     global_buffer
      - .actual_access:  write_only
        .address_space:  global
        .offset:         96
        .size:           8
        .value_kind:     global_buffer
    .group_segment_fixed_size: 0
    .kernarg_segment_align: 8
    .kernarg_segment_size: 104
    .language:       OpenCL C
    .language_version:
      - 2
      - 0
    .max_flat_workgroup_size: 96
    .name:           fft_rtc_back_len2880_factors_10_6_6_2_2_2_wgs_96_tpt_96_halfLds_dp_op_CI_CI_sbrr_dirReg
    .private_segment_fixed_size: 0
    .sgpr_count:     45
    .sgpr_spill_count: 0
    .symbol:         fft_rtc_back_len2880_factors_10_6_6_2_2_2_wgs_96_tpt_96_halfLds_dp_op_CI_CI_sbrr_dirReg.kd
    .uniform_work_group_size: 1
    .uses_dynamic_stack: false
    .vgpr_count:     222
    .vgpr_spill_count: 0
    .wavefront_size: 32
    .workgroup_processor_mode: 1
amdhsa.target:   amdgcn-amd-amdhsa--gfx1201
amdhsa.version:
  - 1
  - 2
...

	.end_amdgpu_metadata
